;; amdgpu-corpus repo=ROCm/rocFFT kind=compiled arch=gfx1100 opt=O3
	.text
	.amdgcn_target "amdgcn-amd-amdhsa--gfx1100"
	.amdhsa_code_object_version 6
	.protected	fft_rtc_back_len1156_factors_17_2_17_2_wgs_204_tpt_68_halfLds_dp_ip_CI_unitstride_sbrr_C2R_dirReg ; -- Begin function fft_rtc_back_len1156_factors_17_2_17_2_wgs_204_tpt_68_halfLds_dp_ip_CI_unitstride_sbrr_C2R_dirReg
	.globl	fft_rtc_back_len1156_factors_17_2_17_2_wgs_204_tpt_68_halfLds_dp_ip_CI_unitstride_sbrr_C2R_dirReg
	.p2align	8
	.type	fft_rtc_back_len1156_factors_17_2_17_2_wgs_204_tpt_68_halfLds_dp_ip_CI_unitstride_sbrr_C2R_dirReg,@function
fft_rtc_back_len1156_factors_17_2_17_2_wgs_204_tpt_68_halfLds_dp_ip_CI_unitstride_sbrr_C2R_dirReg: ; @fft_rtc_back_len1156_factors_17_2_17_2_wgs_204_tpt_68_halfLds_dp_ip_CI_unitstride_sbrr_C2R_dirReg
; %bb.0:
	s_load_b128 s[4:7], s[0:1], 0x0
	v_mul_u32_u24_e32 v1, 0x3c4, v0
	s_clause 0x1
	s_load_b64 s[8:9], s[0:1], 0x50
	s_load_b64 s[10:11], s[0:1], 0x18
	v_mov_b32_e32 v3, 0
	v_lshrrev_b32_e32 v4, 16, v1
	s_delay_alu instid0(VALU_DEP_1) | instskip(SKIP_3) | instid1(VALU_DEP_1)
	v_mad_u64_u32 v[1:2], null, s15, 3, v[4:5]
	v_mov_b32_e32 v5, 0
	v_mov_b32_e32 v6, 0
	;; [unrolled: 1-line block ×4, first 2 shown]
	s_waitcnt lgkmcnt(0)
	v_cmp_lt_u64_e64 s2, s[6:7], 2
	v_mov_b32_e32 v9, v1
	s_delay_alu instid0(VALU_DEP_2)
	s_and_b32 vcc_lo, exec_lo, s2
	s_cbranch_vccnz .LBB0_8
; %bb.1:
	s_load_b64 s[2:3], s[0:1], 0x10
	v_dual_mov_b32 v5, 0 :: v_dual_mov_b32 v8, v2
	s_add_u32 s12, s10, 8
	v_dual_mov_b32 v6, 0 :: v_dual_mov_b32 v7, v1
	s_addc_u32 s13, s11, 0
	s_mov_b64 s[16:17], 1
	s_waitcnt lgkmcnt(0)
	s_add_u32 s14, s2, 8
	s_addc_u32 s15, s3, 0
.LBB0_2:                                ; =>This Inner Loop Header: Depth=1
	s_load_b64 s[18:19], s[14:15], 0x0
                                        ; implicit-def: $vgpr9_vgpr10
	s_mov_b32 s2, exec_lo
	s_waitcnt lgkmcnt(0)
	v_or_b32_e32 v4, s19, v8
	s_delay_alu instid0(VALU_DEP_1)
	v_cmpx_ne_u64_e32 0, v[3:4]
	s_xor_b32 s3, exec_lo, s2
	s_cbranch_execz .LBB0_4
; %bb.3:                                ;   in Loop: Header=BB0_2 Depth=1
	v_cvt_f32_u32_e32 v2, s18
	v_cvt_f32_u32_e32 v4, s19
	s_sub_u32 s2, 0, s18
	s_subb_u32 s20, 0, s19
	s_delay_alu instid0(VALU_DEP_1) | instskip(NEXT) | instid1(VALU_DEP_1)
	v_fmac_f32_e32 v2, 0x4f800000, v4
	v_rcp_f32_e32 v2, v2
	s_waitcnt_depctr 0xfff
	v_mul_f32_e32 v2, 0x5f7ffffc, v2
	s_delay_alu instid0(VALU_DEP_1) | instskip(NEXT) | instid1(VALU_DEP_1)
	v_mul_f32_e32 v4, 0x2f800000, v2
	v_trunc_f32_e32 v4, v4
	s_delay_alu instid0(VALU_DEP_1) | instskip(SKIP_1) | instid1(VALU_DEP_2)
	v_fmac_f32_e32 v2, 0xcf800000, v4
	v_cvt_u32_f32_e32 v4, v4
	v_cvt_u32_f32_e32 v2, v2
	s_delay_alu instid0(VALU_DEP_2) | instskip(NEXT) | instid1(VALU_DEP_2)
	v_mul_lo_u32 v9, s2, v4
	v_mul_hi_u32 v10, s2, v2
	v_mul_lo_u32 v11, s20, v2
	s_delay_alu instid0(VALU_DEP_2) | instskip(SKIP_1) | instid1(VALU_DEP_2)
	v_add_nc_u32_e32 v9, v10, v9
	v_mul_lo_u32 v10, s2, v2
	v_add_nc_u32_e32 v9, v9, v11
	s_delay_alu instid0(VALU_DEP_2) | instskip(NEXT) | instid1(VALU_DEP_2)
	v_mul_hi_u32 v11, v2, v10
	v_mul_lo_u32 v12, v2, v9
	v_mul_hi_u32 v13, v2, v9
	v_mul_hi_u32 v14, v4, v10
	v_mul_lo_u32 v10, v4, v10
	v_mul_hi_u32 v15, v4, v9
	v_mul_lo_u32 v9, v4, v9
	v_add_co_u32 v11, vcc_lo, v11, v12
	v_add_co_ci_u32_e32 v12, vcc_lo, 0, v13, vcc_lo
	s_delay_alu instid0(VALU_DEP_2) | instskip(NEXT) | instid1(VALU_DEP_2)
	v_add_co_u32 v10, vcc_lo, v11, v10
	v_add_co_ci_u32_e32 v10, vcc_lo, v12, v14, vcc_lo
	v_add_co_ci_u32_e32 v11, vcc_lo, 0, v15, vcc_lo
	s_delay_alu instid0(VALU_DEP_2) | instskip(NEXT) | instid1(VALU_DEP_2)
	v_add_co_u32 v9, vcc_lo, v10, v9
	v_add_co_ci_u32_e32 v10, vcc_lo, 0, v11, vcc_lo
	s_delay_alu instid0(VALU_DEP_2) | instskip(NEXT) | instid1(VALU_DEP_2)
	v_add_co_u32 v2, vcc_lo, v2, v9
	v_add_co_ci_u32_e32 v4, vcc_lo, v4, v10, vcc_lo
	s_delay_alu instid0(VALU_DEP_2) | instskip(SKIP_1) | instid1(VALU_DEP_3)
	v_mul_hi_u32 v9, s2, v2
	v_mul_lo_u32 v11, s20, v2
	v_mul_lo_u32 v10, s2, v4
	s_delay_alu instid0(VALU_DEP_1) | instskip(SKIP_1) | instid1(VALU_DEP_2)
	v_add_nc_u32_e32 v9, v9, v10
	v_mul_lo_u32 v10, s2, v2
	v_add_nc_u32_e32 v9, v9, v11
	s_delay_alu instid0(VALU_DEP_2) | instskip(NEXT) | instid1(VALU_DEP_2)
	v_mul_hi_u32 v11, v2, v10
	v_mul_lo_u32 v12, v2, v9
	v_mul_hi_u32 v13, v2, v9
	v_mul_hi_u32 v14, v4, v10
	v_mul_lo_u32 v10, v4, v10
	v_mul_hi_u32 v15, v4, v9
	v_mul_lo_u32 v9, v4, v9
	v_add_co_u32 v11, vcc_lo, v11, v12
	v_add_co_ci_u32_e32 v12, vcc_lo, 0, v13, vcc_lo
	s_delay_alu instid0(VALU_DEP_2) | instskip(NEXT) | instid1(VALU_DEP_2)
	v_add_co_u32 v10, vcc_lo, v11, v10
	v_add_co_ci_u32_e32 v10, vcc_lo, v12, v14, vcc_lo
	v_add_co_ci_u32_e32 v11, vcc_lo, 0, v15, vcc_lo
	s_delay_alu instid0(VALU_DEP_2) | instskip(NEXT) | instid1(VALU_DEP_2)
	v_add_co_u32 v9, vcc_lo, v10, v9
	v_add_co_ci_u32_e32 v10, vcc_lo, 0, v11, vcc_lo
	s_delay_alu instid0(VALU_DEP_2) | instskip(NEXT) | instid1(VALU_DEP_2)
	v_add_co_u32 v2, vcc_lo, v2, v9
	v_add_co_ci_u32_e32 v4, vcc_lo, v4, v10, vcc_lo
	s_delay_alu instid0(VALU_DEP_2) | instskip(SKIP_1) | instid1(VALU_DEP_3)
	v_mul_hi_u32 v15, v7, v2
	v_mad_u64_u32 v[11:12], null, v8, v2, 0
	v_mad_u64_u32 v[9:10], null, v7, v4, 0
	;; [unrolled: 1-line block ×3, first 2 shown]
	s_delay_alu instid0(VALU_DEP_2) | instskip(NEXT) | instid1(VALU_DEP_3)
	v_add_co_u32 v2, vcc_lo, v15, v9
	v_add_co_ci_u32_e32 v4, vcc_lo, 0, v10, vcc_lo
	s_delay_alu instid0(VALU_DEP_2) | instskip(NEXT) | instid1(VALU_DEP_2)
	v_add_co_u32 v2, vcc_lo, v2, v11
	v_add_co_ci_u32_e32 v2, vcc_lo, v4, v12, vcc_lo
	v_add_co_ci_u32_e32 v4, vcc_lo, 0, v14, vcc_lo
	s_delay_alu instid0(VALU_DEP_2) | instskip(NEXT) | instid1(VALU_DEP_2)
	v_add_co_u32 v2, vcc_lo, v2, v13
	v_add_co_ci_u32_e32 v4, vcc_lo, 0, v4, vcc_lo
	s_delay_alu instid0(VALU_DEP_2) | instskip(SKIP_1) | instid1(VALU_DEP_3)
	v_mul_lo_u32 v11, s19, v2
	v_mad_u64_u32 v[9:10], null, s18, v2, 0
	v_mul_lo_u32 v12, s18, v4
	s_delay_alu instid0(VALU_DEP_2) | instskip(NEXT) | instid1(VALU_DEP_2)
	v_sub_co_u32 v9, vcc_lo, v7, v9
	v_add3_u32 v10, v10, v12, v11
	s_delay_alu instid0(VALU_DEP_1) | instskip(NEXT) | instid1(VALU_DEP_1)
	v_sub_nc_u32_e32 v11, v8, v10
	v_subrev_co_ci_u32_e64 v11, s2, s19, v11, vcc_lo
	v_add_co_u32 v12, s2, v2, 2
	s_delay_alu instid0(VALU_DEP_1) | instskip(SKIP_3) | instid1(VALU_DEP_3)
	v_add_co_ci_u32_e64 v13, s2, 0, v4, s2
	v_sub_co_u32 v14, s2, v9, s18
	v_sub_co_ci_u32_e32 v10, vcc_lo, v8, v10, vcc_lo
	v_subrev_co_ci_u32_e64 v11, s2, 0, v11, s2
	v_cmp_le_u32_e32 vcc_lo, s18, v14
	s_delay_alu instid0(VALU_DEP_3) | instskip(SKIP_1) | instid1(VALU_DEP_4)
	v_cmp_eq_u32_e64 s2, s19, v10
	v_cndmask_b32_e64 v14, 0, -1, vcc_lo
	v_cmp_le_u32_e32 vcc_lo, s19, v11
	v_cndmask_b32_e64 v15, 0, -1, vcc_lo
	v_cmp_le_u32_e32 vcc_lo, s18, v9
	;; [unrolled: 2-line block ×3, first 2 shown]
	v_cndmask_b32_e64 v16, 0, -1, vcc_lo
	v_cmp_eq_u32_e32 vcc_lo, s19, v11
	s_delay_alu instid0(VALU_DEP_2) | instskip(SKIP_3) | instid1(VALU_DEP_3)
	v_cndmask_b32_e64 v9, v16, v9, s2
	v_cndmask_b32_e32 v11, v15, v14, vcc_lo
	v_add_co_u32 v14, vcc_lo, v2, 1
	v_add_co_ci_u32_e32 v15, vcc_lo, 0, v4, vcc_lo
	v_cmp_ne_u32_e32 vcc_lo, 0, v11
	s_delay_alu instid0(VALU_DEP_2) | instskip(SKIP_1) | instid1(VALU_DEP_2)
	v_dual_cndmask_b32 v10, v15, v13 :: v_dual_cndmask_b32 v11, v14, v12
	v_cmp_ne_u32_e32 vcc_lo, 0, v9
	v_dual_cndmask_b32 v10, v4, v10 :: v_dual_cndmask_b32 v9, v2, v11
.LBB0_4:                                ;   in Loop: Header=BB0_2 Depth=1
	s_and_not1_saveexec_b32 s2, s3
	s_cbranch_execz .LBB0_6
; %bb.5:                                ;   in Loop: Header=BB0_2 Depth=1
	v_cvt_f32_u32_e32 v2, s18
	s_sub_i32 s3, 0, s18
	s_delay_alu instid0(VALU_DEP_1) | instskip(SKIP_2) | instid1(VALU_DEP_1)
	v_rcp_iflag_f32_e32 v2, v2
	s_waitcnt_depctr 0xfff
	v_mul_f32_e32 v2, 0x4f7ffffe, v2
	v_cvt_u32_f32_e32 v2, v2
	s_delay_alu instid0(VALU_DEP_1) | instskip(NEXT) | instid1(VALU_DEP_1)
	v_mul_lo_u32 v4, s3, v2
	v_mul_hi_u32 v4, v2, v4
	s_delay_alu instid0(VALU_DEP_1) | instskip(NEXT) | instid1(VALU_DEP_1)
	v_add_nc_u32_e32 v2, v2, v4
	v_mul_hi_u32 v2, v7, v2
	s_delay_alu instid0(VALU_DEP_1) | instskip(SKIP_1) | instid1(VALU_DEP_2)
	v_mul_lo_u32 v4, v2, s18
	v_add_nc_u32_e32 v9, 1, v2
	v_sub_nc_u32_e32 v4, v7, v4
	s_delay_alu instid0(VALU_DEP_1) | instskip(SKIP_1) | instid1(VALU_DEP_2)
	v_subrev_nc_u32_e32 v10, s18, v4
	v_cmp_le_u32_e32 vcc_lo, s18, v4
	v_cndmask_b32_e32 v4, v4, v10, vcc_lo
	v_mov_b32_e32 v10, v3
	v_cndmask_b32_e32 v2, v2, v9, vcc_lo
	s_delay_alu instid0(VALU_DEP_3) | instskip(NEXT) | instid1(VALU_DEP_2)
	v_cmp_le_u32_e32 vcc_lo, s18, v4
	v_add_nc_u32_e32 v9, 1, v2
	s_delay_alu instid0(VALU_DEP_1)
	v_cndmask_b32_e32 v9, v2, v9, vcc_lo
.LBB0_6:                                ;   in Loop: Header=BB0_2 Depth=1
	s_or_b32 exec_lo, exec_lo, s2
	s_load_b64 s[2:3], s[12:13], 0x0
	v_mul_lo_u32 v2, v10, s18
	s_delay_alu instid0(VALU_DEP_2)
	v_mul_lo_u32 v4, v9, s19
	v_mad_u64_u32 v[11:12], null, v9, s18, 0
	s_add_u32 s16, s16, 1
	s_addc_u32 s17, s17, 0
	s_add_u32 s12, s12, 8
	s_addc_u32 s13, s13, 0
	;; [unrolled: 2-line block ×3, first 2 shown]
	s_delay_alu instid0(VALU_DEP_1) | instskip(SKIP_1) | instid1(VALU_DEP_2)
	v_add3_u32 v2, v12, v4, v2
	v_sub_co_u32 v4, vcc_lo, v7, v11
	v_sub_co_ci_u32_e32 v2, vcc_lo, v8, v2, vcc_lo
	s_waitcnt lgkmcnt(0)
	s_delay_alu instid0(VALU_DEP_2) | instskip(NEXT) | instid1(VALU_DEP_2)
	v_mul_lo_u32 v11, s3, v4
	v_mul_lo_u32 v2, s2, v2
	v_mad_u64_u32 v[7:8], null, s2, v4, v[5:6]
	v_cmp_ge_u64_e64 s2, s[16:17], s[6:7]
	s_delay_alu instid0(VALU_DEP_1) | instskip(NEXT) | instid1(VALU_DEP_2)
	s_and_b32 vcc_lo, exec_lo, s2
	v_add3_u32 v6, v11, v8, v2
	s_delay_alu instid0(VALU_DEP_3)
	v_mov_b32_e32 v5, v7
	s_cbranch_vccnz .LBB0_8
; %bb.7:                                ;   in Loop: Header=BB0_2 Depth=1
	v_dual_mov_b32 v7, v9 :: v_dual_mov_b32 v8, v10
	s_branch .LBB0_2
.LBB0_8:
	s_lshl_b64 s[2:3], s[6:7], 3
	v_mul_hi_u32 v2, 0xaaaaaaab, v1
	s_add_u32 s2, s10, s2
	s_addc_u32 s3, s11, s3
	s_load_b64 s[0:1], s[0:1], 0x20
	s_load_b64 s[2:3], s[2:3], 0x0
	v_mul_hi_u32 v4, 0x3c3c3c4, v0
	s_delay_alu instid0(VALU_DEP_2) | instskip(NEXT) | instid1(VALU_DEP_2)
	v_lshrrev_b32_e32 v2, 1, v2
	v_mul_u32_u24_e32 v4, 0x44, v4
	s_delay_alu instid0(VALU_DEP_2) | instskip(NEXT) | instid1(VALU_DEP_2)
	v_lshl_add_u32 v7, v2, 1, v2
	v_sub_nc_u32_e32 v4, v0, v4
	s_delay_alu instid0(VALU_DEP_2)
	v_sub_nc_u32_e32 v1, v1, v7
	s_waitcnt lgkmcnt(0)
	v_cmp_gt_u64_e32 vcc_lo, s[0:1], v[9:10]
	v_mul_lo_u32 v8, s2, v10
	v_mul_lo_u32 v11, s3, v9
	v_mad_u64_u32 v[2:3], null, s2, v9, v[5:6]
	v_mul_u32_u24_e32 v6, 0x485, v1
	v_dual_mov_b32 v5, 0 :: v_dual_mov_b32 v228, v4
	s_delay_alu instid0(VALU_DEP_2) | instskip(NEXT) | instid1(VALU_DEP_4)
	v_lshlrev_b32_e32 v72, 4, v6
	v_add3_u32 v3, v11, v3, v8
	s_delay_alu instid0(VALU_DEP_1)
	v_lshlrev_b64 v[0:1], 4, v[2:3]
	s_clause 0x1
	scratch_store_b64 off, v[0:1], off offset:12
	scratch_store_b32 off, v6, off
	s_and_saveexec_b32 s1, vcc_lo
	s_cbranch_execz .LBB0_12
; %bb.9:
	scratch_load_b64 v[2:3], off, off offset:12 ; 8-byte Folded Reload
	v_lshlrev_b64 v[0:1], 4, v[4:5]
	s_mov_b32 s2, exec_lo
	s_waitcnt vmcnt(0)
	v_add_co_u32 v2, s0, s8, v2
	s_delay_alu instid0(VALU_DEP_1) | instskip(NEXT) | instid1(VALU_DEP_2)
	v_add_co_ci_u32_e64 v3, s0, s9, v3, s0
	v_add_co_u32 v0, s0, v2, v0
	s_delay_alu instid0(VALU_DEP_1)
	v_add_co_ci_u32_e64 v1, s0, v3, v1, s0
	s_clause 0x3
	global_load_b128 v[7:10], v[0:1], off
	global_load_b128 v[11:14], v[0:1], off offset:1088
	global_load_b128 v[15:18], v[0:1], off offset:2176
	;; [unrolled: 1-line block ×3, first 2 shown]
	v_add_co_u32 v35, s0, 0x1000, v0
	s_delay_alu instid0(VALU_DEP_1) | instskip(SKIP_1) | instid1(VALU_DEP_1)
	v_add_co_ci_u32_e64 v36, s0, 0, v1, s0
	v_add_co_u32 v51, s0, 0x2000, v0
	v_add_co_ci_u32_e64 v52, s0, 0, v1, s0
	v_add_co_u32 v67, s0, 0x3000, v0
	s_delay_alu instid0(VALU_DEP_1) | instskip(SKIP_1) | instid1(VALU_DEP_1)
	v_add_co_ci_u32_e64 v68, s0, 0, v1, s0
	v_add_co_u32 v0, s0, 0x4000, v0
	v_add_co_ci_u32_e64 v1, s0, 0, v1, s0
	s_clause 0xc
	global_load_b128 v[23:26], v[35:36], off offset:256
	global_load_b128 v[27:30], v[35:36], off offset:1344
	;; [unrolled: 1-line block ×13, first 2 shown]
	v_lshlrev_b32_e32 v0, 4, v4
	s_delay_alu instid0(VALU_DEP_1)
	v_add3_u32 v6, 0, v72, v0
	v_dual_mov_b32 v0, v4 :: v_dual_mov_b32 v1, v5
	s_waitcnt vmcnt(16)
	ds_store_b128 v6, v[7:10]
	s_waitcnt vmcnt(15)
	ds_store_b128 v6, v[11:14] offset:1088
	s_waitcnt vmcnt(14)
	ds_store_b128 v6, v[15:18] offset:2176
	s_waitcnt vmcnt(13)
	ds_store_b128 v6, v[19:22] offset:3264
	s_waitcnt vmcnt(12)
	ds_store_b128 v6, v[23:26] offset:4352
	s_waitcnt vmcnt(11)
	ds_store_b128 v6, v[27:30] offset:5440
	s_waitcnt vmcnt(10)
	ds_store_b128 v6, v[31:34] offset:6528
	s_waitcnt vmcnt(9)
	ds_store_b128 v6, v[35:38] offset:7616
	s_waitcnt vmcnt(8)
	ds_store_b128 v6, v[39:42] offset:8704
	s_waitcnt vmcnt(7)
	ds_store_b128 v6, v[43:46] offset:9792
	s_waitcnt vmcnt(6)
	ds_store_b128 v6, v[47:50] offset:10880
	s_waitcnt vmcnt(5)
	ds_store_b128 v6, v[51:54] offset:11968
	s_waitcnt vmcnt(4)
	ds_store_b128 v6, v[55:58] offset:13056
	s_waitcnt vmcnt(3)
	ds_store_b128 v6, v[59:62] offset:14144
	s_waitcnt vmcnt(2)
	ds_store_b128 v6, v[63:66] offset:15232
	s_waitcnt vmcnt(1)
	ds_store_b128 v6, v[67:70] offset:16320
	s_waitcnt vmcnt(0)
	ds_store_b128 v6, v[76:79] offset:17408
	v_cmpx_eq_u32_e32 0x43, v4
	s_cbranch_execz .LBB0_11
; %bb.10:
	v_add_co_u32 v0, s0, 0x4000, v2
	s_delay_alu instid0(VALU_DEP_1)
	v_add_co_ci_u32_e64 v1, s0, 0, v3, s0
	v_mov_b32_e32 v4, 0x43
	global_load_b128 v[7:10], v[0:1], off offset:2112
	v_mov_b32_e32 v0, 0x43
	v_mov_b32_e32 v1, 0
	s_waitcnt vmcnt(0)
	ds_store_b128 v6, v[7:10] offset:17424
.LBB0_11:
	s_or_b32 exec_lo, exec_lo, s2
	v_dual_mov_b32 v228, v4 :: v_dual_mov_b32 v5, v1
	v_mov_b32_e32 v4, v0
.LBB0_12:
	s_or_b32 exec_lo, exec_lo, s1
	scratch_load_b32 v0, off, off           ; 4-byte Folded Reload
	v_lshlrev_b64 v[4:5], 4, v[4:5]
	s_add_u32 s1, s4, 0x4730
	s_addc_u32 s2, s5, 0
	s_mov_b32 s3, exec_lo
	s_waitcnt vmcnt(0)
	v_lshl_add_u32 v1, v0, 4, 0
	v_lshlrev_b32_e32 v0, 4, v228
	scratch_store_b32 off, v1, off offset:84 ; 4-byte Folded Spill
	v_add_nc_u32_e32 v73, v1, v0
	v_sub_nc_u32_e32 v10, v1, v0
	s_waitcnt lgkmcnt(0)
	s_waitcnt_vscnt null, 0x0
	s_barrier
	buffer_gl0_inv
	ds_load_b64 v[6:7], v73
	ds_load_b64 v[8:9], v10 offset:18496
	scratch_store_b64 off, v[4:5], off offset:4 ; 8-byte Folded Spill
	s_waitcnt lgkmcnt(0)
	v_add_f64 v[0:1], v[6:7], v[8:9]
	v_add_f64 v[2:3], v[6:7], -v[8:9]
	v_cmpx_ne_u32_e32 0, v228
	s_xor_b32 s3, exec_lo, s3
	s_cbranch_execz .LBB0_14
; %bb.13:
	scratch_load_b64 v[0:1], off, off offset:4 ; 8-byte Folded Reload
	v_add_f64 v[13:14], v[6:7], v[8:9]
	v_add_f64 v[8:9], v[6:7], -v[8:9]
	s_waitcnt vmcnt(0)
	v_add_co_u32 v0, s0, s1, v0
	s_delay_alu instid0(VALU_DEP_1)
	v_add_co_ci_u32_e64 v1, s0, s2, v1, s0
	global_load_b128 v[2:5], v[0:1], off
	ds_load_b64 v[0:1], v10 offset:18504
	ds_load_b64 v[11:12], v73 offset:8
	s_waitcnt lgkmcnt(0)
	v_add_f64 v[6:7], v[0:1], v[11:12]
	v_add_f64 v[0:1], v[11:12], -v[0:1]
	s_waitcnt vmcnt(0)
	v_fma_f64 v[11:12], v[8:9], v[4:5], v[13:14]
	v_fma_f64 v[13:14], -v[8:9], v[4:5], v[13:14]
	s_delay_alu instid0(VALU_DEP_3) | instskip(SKIP_1) | instid1(VALU_DEP_4)
	v_fma_f64 v[15:16], v[6:7], v[4:5], -v[0:1]
	v_fma_f64 v[17:18], v[6:7], v[4:5], v[0:1]
	v_fma_f64 v[0:1], -v[6:7], v[2:3], v[11:12]
	s_delay_alu instid0(VALU_DEP_4) | instskip(NEXT) | instid1(VALU_DEP_4)
	v_fma_f64 v[4:5], v[6:7], v[2:3], v[13:14]
	v_fma_f64 v[6:7], v[8:9], v[2:3], v[15:16]
	s_delay_alu instid0(VALU_DEP_4)
	v_fma_f64 v[2:3], v[8:9], v[2:3], v[17:18]
	ds_store_b128 v10, v[4:7] offset:18496
.LBB0_14:
	s_and_not1_saveexec_b32 s0, s3
	s_cbranch_execz .LBB0_16
; %bb.15:
	scratch_load_b32 v4, off, off           ; 4-byte Folded Reload
	s_waitcnt vmcnt(0)
	v_lshl_add_u32 v8, v4, 4, 0
	ds_load_b128 v[4:7], v8 offset:9248
	s_waitcnt lgkmcnt(0)
	v_add_f64 v[4:5], v[4:5], v[4:5]
	v_mul_f64 v[6:7], v[6:7], -2.0
	ds_store_b128 v8, v[4:7] offset:9248
.LBB0_16:
	s_or_b32 exec_lo, exec_lo, s0
	v_mov_b32_e32 v229, 0
	s_delay_alu instid0(VALU_DEP_1) | instskip(NEXT) | instid1(VALU_DEP_1)
	v_lshlrev_b64 v[5:6], 4, v[228:229]
	v_add_co_u32 v4, s0, s1, v5
	scratch_store_b64 off, v[5:6], off offset:20 ; 8-byte Folded Spill
	v_add_co_ci_u32_e64 v5, s0, s2, v6, s0
	s_clause 0x1
	global_load_b128 v[6:9], v[4:5], off offset:1088
	global_load_b128 v[11:14], v[4:5], off offset:2176
	ds_store_b128 v73, v[0:3]
	ds_load_b128 v[0:3], v73 offset:1088
	ds_load_b128 v[15:18], v10 offset:17408
	global_load_b128 v[19:22], v[4:5], off offset:3264
	s_waitcnt lgkmcnt(0)
	v_add_f64 v[23:24], v[0:1], v[15:16]
	v_add_f64 v[25:26], v[17:18], v[2:3]
	v_add_f64 v[27:28], v[0:1], -v[15:16]
	v_add_f64 v[0:1], v[2:3], -v[17:18]
	s_waitcnt vmcnt(2)
	s_delay_alu instid0(VALU_DEP_2) | instskip(NEXT) | instid1(VALU_DEP_2)
	v_fma_f64 v[2:3], v[27:28], v[8:9], v[23:24]
	v_fma_f64 v[15:16], v[25:26], v[8:9], v[0:1]
	v_fma_f64 v[17:18], -v[27:28], v[8:9], v[23:24]
	v_fma_f64 v[8:9], v[25:26], v[8:9], -v[0:1]
	v_add_co_u32 v23, s0, 0x1000, v4
	s_delay_alu instid0(VALU_DEP_1)
	v_add_co_ci_u32_e64 v24, s0, 0, v5, s0
	v_cmp_gt_u32_e64 s0, 34, v228
	v_fma_f64 v[0:1], -v[25:26], v[6:7], v[2:3]
	v_fma_f64 v[2:3], v[27:28], v[6:7], v[15:16]
	v_fma_f64 v[15:16], v[25:26], v[6:7], v[17:18]
	;; [unrolled: 1-line block ×3, first 2 shown]
	ds_store_b128 v73, v[0:3] offset:1088
	ds_store_b128 v10, v[15:18] offset:17408
	ds_load_b128 v[0:3], v73 offset:2176
	ds_load_b128 v[6:9], v10 offset:16320
	global_load_b128 v[15:18], v[23:24], off offset:256
	s_waitcnt lgkmcnt(0)
	v_add_f64 v[25:26], v[0:1], v[6:7]
	v_add_f64 v[27:28], v[8:9], v[2:3]
	v_add_f64 v[29:30], v[0:1], -v[6:7]
	v_add_f64 v[0:1], v[2:3], -v[8:9]
	s_waitcnt vmcnt(2)
	s_delay_alu instid0(VALU_DEP_2) | instskip(NEXT) | instid1(VALU_DEP_2)
	v_fma_f64 v[2:3], v[29:30], v[13:14], v[25:26]
	v_fma_f64 v[6:7], v[27:28], v[13:14], v[0:1]
	v_fma_f64 v[8:9], -v[29:30], v[13:14], v[25:26]
	v_fma_f64 v[13:14], v[27:28], v[13:14], -v[0:1]
	s_delay_alu instid0(VALU_DEP_4) | instskip(NEXT) | instid1(VALU_DEP_4)
	v_fma_f64 v[0:1], -v[27:28], v[11:12], v[2:3]
	v_fma_f64 v[2:3], v[29:30], v[11:12], v[6:7]
	s_delay_alu instid0(VALU_DEP_4) | instskip(NEXT) | instid1(VALU_DEP_4)
	v_fma_f64 v[6:7], v[27:28], v[11:12], v[8:9]
	v_fma_f64 v[8:9], v[29:30], v[11:12], v[13:14]
	ds_store_b128 v73, v[0:3] offset:2176
	ds_store_b128 v10, v[6:9] offset:16320
	ds_load_b128 v[0:3], v73 offset:3264
	ds_load_b128 v[6:9], v10 offset:15232
	global_load_b128 v[11:14], v[23:24], off offset:1344
	s_waitcnt lgkmcnt(0)
	v_add_f64 v[25:26], v[0:1], v[6:7]
	v_add_f64 v[27:28], v[8:9], v[2:3]
	v_add_f64 v[29:30], v[0:1], -v[6:7]
	v_add_f64 v[0:1], v[2:3], -v[8:9]
	s_waitcnt vmcnt(2)
	s_delay_alu instid0(VALU_DEP_2) | instskip(NEXT) | instid1(VALU_DEP_2)
	v_fma_f64 v[2:3], v[29:30], v[21:22], v[25:26]
	v_fma_f64 v[6:7], v[27:28], v[21:22], v[0:1]
	v_fma_f64 v[8:9], -v[29:30], v[21:22], v[25:26]
	v_fma_f64 v[21:22], v[27:28], v[21:22], -v[0:1]
	s_delay_alu instid0(VALU_DEP_4) | instskip(NEXT) | instid1(VALU_DEP_4)
	v_fma_f64 v[0:1], -v[27:28], v[19:20], v[2:3]
	v_fma_f64 v[2:3], v[29:30], v[19:20], v[6:7]
	s_delay_alu instid0(VALU_DEP_4) | instskip(NEXT) | instid1(VALU_DEP_4)
	v_fma_f64 v[6:7], v[27:28], v[19:20], v[8:9]
	v_fma_f64 v[8:9], v[29:30], v[19:20], v[21:22]
	;; [unrolled: 22-line block ×4, first 2 shown]
	ds_store_b128 v73, v[0:3] offset:5440
	ds_store_b128 v10, v[6:9] offset:13056
	ds_load_b128 v[0:3], v73 offset:6528
	ds_load_b128 v[6:9], v10 offset:11968
	s_waitcnt lgkmcnt(0)
	v_add_f64 v[11:12], v[0:1], v[6:7]
	v_add_f64 v[13:14], v[8:9], v[2:3]
	v_add_f64 v[23:24], v[0:1], -v[6:7]
	v_add_f64 v[0:1], v[2:3], -v[8:9]
	s_waitcnt vmcnt(1)
	s_delay_alu instid0(VALU_DEP_2) | instskip(NEXT) | instid1(VALU_DEP_2)
	v_fma_f64 v[2:3], v[23:24], v[21:22], v[11:12]
	v_fma_f64 v[6:7], v[13:14], v[21:22], v[0:1]
	v_fma_f64 v[8:9], -v[23:24], v[21:22], v[11:12]
	v_fma_f64 v[11:12], v[13:14], v[21:22], -v[0:1]
	s_delay_alu instid0(VALU_DEP_4) | instskip(NEXT) | instid1(VALU_DEP_4)
	v_fma_f64 v[0:1], -v[13:14], v[19:20], v[2:3]
	v_fma_f64 v[2:3], v[23:24], v[19:20], v[6:7]
	s_delay_alu instid0(VALU_DEP_4) | instskip(NEXT) | instid1(VALU_DEP_4)
	v_fma_f64 v[6:7], v[13:14], v[19:20], v[8:9]
	v_fma_f64 v[8:9], v[23:24], v[19:20], v[11:12]
	ds_store_b128 v73, v[0:3] offset:6528
	ds_store_b128 v10, v[6:9] offset:11968
	ds_load_b128 v[0:3], v73 offset:7616
	ds_load_b128 v[6:9], v10 offset:10880
	s_waitcnt lgkmcnt(0)
	v_add_f64 v[11:12], v[0:1], v[6:7]
	v_add_f64 v[13:14], v[8:9], v[2:3]
	v_add_f64 v[19:20], v[0:1], -v[6:7]
	v_add_f64 v[0:1], v[2:3], -v[8:9]
	s_waitcnt vmcnt(0)
	s_delay_alu instid0(VALU_DEP_2) | instskip(NEXT) | instid1(VALU_DEP_2)
	v_fma_f64 v[2:3], v[19:20], v[17:18], v[11:12]
	v_fma_f64 v[6:7], v[13:14], v[17:18], v[0:1]
	v_fma_f64 v[8:9], -v[19:20], v[17:18], v[11:12]
	v_fma_f64 v[11:12], v[13:14], v[17:18], -v[0:1]
	s_delay_alu instid0(VALU_DEP_4) | instskip(NEXT) | instid1(VALU_DEP_4)
	v_fma_f64 v[0:1], -v[13:14], v[15:16], v[2:3]
	v_fma_f64 v[2:3], v[19:20], v[15:16], v[6:7]
	s_delay_alu instid0(VALU_DEP_4) | instskip(NEXT) | instid1(VALU_DEP_4)
	v_fma_f64 v[6:7], v[13:14], v[15:16], v[8:9]
	v_fma_f64 v[8:9], v[19:20], v[15:16], v[11:12]
	ds_store_b128 v73, v[0:3] offset:7616
	ds_store_b128 v10, v[6:9] offset:10880
	s_and_saveexec_b32 s2, s0
	s_cbranch_execz .LBB0_18
; %bb.17:
	v_add_co_u32 v0, s1, 0x2000, v4
	s_delay_alu instid0(VALU_DEP_1)
	v_add_co_ci_u32_e64 v1, s1, 0, v5, s1
	global_load_b128 v[0:3], v[0:1], off offset:512
	ds_load_b128 v[4:7], v73 offset:8704
	ds_load_b128 v[11:14], v10 offset:9792
	s_waitcnt lgkmcnt(0)
	v_add_f64 v[8:9], v[4:5], v[11:12]
	v_add_f64 v[15:16], v[13:14], v[6:7]
	v_add_f64 v[11:12], v[4:5], -v[11:12]
	v_add_f64 v[4:5], v[6:7], -v[13:14]
	s_waitcnt vmcnt(0)
	s_delay_alu instid0(VALU_DEP_2) | instskip(NEXT) | instid1(VALU_DEP_2)
	v_fma_f64 v[6:7], v[11:12], v[2:3], v[8:9]
	v_fma_f64 v[13:14], v[15:16], v[2:3], v[4:5]
	v_fma_f64 v[8:9], -v[11:12], v[2:3], v[8:9]
	v_fma_f64 v[17:18], v[15:16], v[2:3], -v[4:5]
	s_delay_alu instid0(VALU_DEP_4) | instskip(NEXT) | instid1(VALU_DEP_4)
	v_fma_f64 v[2:3], -v[15:16], v[0:1], v[6:7]
	v_fma_f64 v[4:5], v[11:12], v[0:1], v[13:14]
	s_delay_alu instid0(VALU_DEP_4) | instskip(NEXT) | instid1(VALU_DEP_4)
	v_fma_f64 v[6:7], v[15:16], v[0:1], v[8:9]
	v_fma_f64 v[8:9], v[11:12], v[0:1], v[17:18]
	ds_store_b128 v73, v[2:5] offset:8704
	ds_store_b128 v10, v[6:9] offset:9792
.LBB0_18:
	s_or_b32 exec_lo, exec_lo, s2
	v_lshl_add_u32 v0, v228, 4, 0
	s_waitcnt lgkmcnt(0)
	s_waitcnt_vscnt null, 0x0
	s_barrier
	buffer_gl0_inv
	v_add_nc_u32_e32 v229, v0, v72
	s_barrier
	buffer_gl0_inv
	s_mov_b32 s38, 0x5d8e7cdc
	ds_load_b128 v[0:3], v73
	ds_load_b128 v[4:7], v229 offset:1088
	ds_load_b128 v[8:11], v229 offset:2176
	;; [unrolled: 1-line block ×3, first 2 shown]
	s_mov_b32 s18, 0x2a9d6da3
	s_mov_b32 s16, 0x7c9e640b
	;; [unrolled: 1-line block ×18, first 2 shown]
	s_waitcnt lgkmcnt(2)
	v_add_f64 v[16:17], v[0:1], v[4:5]
	v_add_f64 v[18:19], v[2:3], v[6:7]
	s_mov_b32 s28, 0x3259b75e
	s_mov_b32 s26, 0xc61f0d01
	;; [unrolled: 1-line block ×29, first 2 shown]
	s_waitcnt lgkmcnt(1)
	s_delay_alu instid0(VALU_DEP_2) | instskip(NEXT) | instid1(VALU_DEP_2)
	v_add_f64 v[16:17], v[16:17], v[8:9]
	v_add_f64 v[18:19], v[18:19], v[10:11]
	s_waitcnt lgkmcnt(0)
	s_delay_alu instid0(VALU_DEP_2) | instskip(NEXT) | instid1(VALU_DEP_2)
	v_add_f64 v[24:25], v[16:17], v[12:13]
	v_add_f64 v[26:27], v[18:19], v[14:15]
	ds_load_b128 v[16:19], v229 offset:4352
	ds_load_b128 v[20:23], v229 offset:5440
	s_waitcnt lgkmcnt(1)
	v_add_f64 v[24:25], v[24:25], v[16:17]
	v_add_f64 v[26:27], v[26:27], v[18:19]
	s_waitcnt lgkmcnt(0)
	s_delay_alu instid0(VALU_DEP_2) | instskip(NEXT) | instid1(VALU_DEP_2)
	v_add_f64 v[32:33], v[24:25], v[20:21]
	v_add_f64 v[34:35], v[26:27], v[22:23]
	ds_load_b128 v[24:27], v229 offset:6528
	ds_load_b128 v[28:31], v229 offset:7616
	s_waitcnt lgkmcnt(1)
	;; [unrolled: 9-line block ×3, first 2 shown]
	v_add_f64 v[100:101], v[34:35], v[38:39]
	v_add_f64 v[102:103], v[34:35], -v[38:39]
	v_add_f64 v[42:43], v[40:41], v[32:33]
	v_add_f64 v[44:45], v[44:45], v[34:35]
	;; [unrolled: 1-line block ×3, first 2 shown]
	v_add_f64 v[32:33], v[32:33], -v[36:37]
	v_mul_f64 v[150:151], v[100:101], s[36:37]
	v_mul_f64 v[148:149], v[102:103], s[40:41]
	;; [unrolled: 1-line block ×8, first 2 shown]
	v_add_f64 v[50:51], v[42:43], v[36:37]
	v_add_f64 v[38:39], v[44:45], v[38:39]
	ds_load_b128 v[42:45], v229 offset:10880
	ds_load_b128 v[46:49], v229 offset:11968
	s_waitcnt lgkmcnt(1)
	v_add_f64 v[34:35], v[28:29], v[42:43]
	v_add_f64 v[36:37], v[28:29], -v[42:43]
	v_add_f64 v[108:109], v[30:31], v[44:45]
	v_add_f64 v[110:111], v[30:31], -v[44:45]
	s_waitcnt lgkmcnt(0)
	v_add_f64 v[112:113], v[26:27], v[48:49]
	v_add_f64 v[114:115], v[26:27], -v[48:49]
	v_add_f64 v[28:29], v[50:51], v[42:43]
	v_add_f64 v[30:31], v[38:39], v[44:45]
	;; [unrolled: 1-line block ×3, first 2 shown]
	v_add_f64 v[42:43], v[24:25], -v[46:47]
	v_mul_f64 v[142:143], v[108:109], s[30:31]
	v_mul_f64 v[140:141], v[110:111], s[42:43]
	v_mul_f64 v[136:137], v[112:113], s[26:27]
	v_mul_f64 v[134:135], v[114:115], s[44:45]
	v_mul_f64 v[180:181], v[114:115], s[38:39]
	v_mul_f64 v[182:183], v[112:113], s[36:37]
	v_mul_f64 v[184:185], v[110:111], s[14:15]
	v_mul_f64 v[186:187], v[108:109], s[28:29]
	v_mul_f64 v[250:251], v[114:115], s[6:7]
	v_mul_f64 v[252:253], v[112:113], s[22:23]
	v_mul_f64 v[254:255], v[110:111], s[52:53]
	v_mul_f64 v[74:75], v[108:109], s[24:25]
	v_mul_f64 v[222:223], v[114:115], s[54:55]
	v_add_f64 v[50:51], v[28:29], v[46:47]
	v_add_f64 v[48:49], v[30:31], v[48:49]
	ds_load_b128 v[24:27], v229 offset:13056
	ds_load_b128 v[28:31], v229 offset:14144
	s_waitcnt lgkmcnt(1)
	v_add_f64 v[44:45], v[20:21], v[24:25]
	v_add_f64 v[46:47], v[20:21], -v[24:25]
	v_add_f64 v[128:129], v[22:23], v[26:27]
	v_add_f64 v[138:139], v[22:23], -v[26:27]
	s_waitcnt lgkmcnt(0)
	v_add_f64 v[144:145], v[18:19], v[30:31]
	v_add_f64 v[146:147], v[18:19], -v[30:31]
	v_add_f64 v[20:21], v[50:51], v[24:25]
	v_add_f64 v[22:23], v[48:49], v[26:27]
	;; [unrolled: 1-line block ×3, first 2 shown]
	v_add_f64 v[50:51], v[16:17], -v[28:29]
	v_mul_f64 v[132:133], v[128:129], s[22:23]
	v_mul_f64 v[130:131], v[138:139], s[46:47]
	;; [unrolled: 1-line block ×10, first 2 shown]
	v_add_f64 v[24:25], v[20:21], v[28:29]
	v_add_f64 v[26:27], v[22:23], v[30:31]
	ds_load_b128 v[16:19], v229 offset:15232
	ds_load_b128 v[20:23], v229 offset:16320
	s_waitcnt lgkmcnt(1)
	v_add_f64 v[52:53], v[12:13], v[16:17]
	v_add_f64 v[54:55], v[12:13], -v[16:17]
	v_add_f64 v[152:153], v[14:15], v[18:19]
	v_add_f64 v[154:155], v[14:15], -v[18:19]
	s_waitcnt lgkmcnt(0)
	v_add_f64 v[156:157], v[10:11], v[22:23]
	v_add_f64 v[158:159], v[10:11], -v[22:23]
	v_add_f64 v[56:57], v[8:9], v[20:21]
	v_add_f64 v[8:9], v[8:9], -v[20:21]
	v_add_f64 v[12:13], v[24:25], v[16:17]
	v_add_f64 v[14:15], v[26:27], v[18:19]
	v_mul_f64 v[170:171], v[152:153], s[20:21]
	v_mul_f64 v[238:239], v[154:155], s[44:45]
	v_mul_f64 v[236:237], v[156:157], s[20:21]
	v_mul_f64 v[164:165], v[158:159], s[10:11]
	v_mul_f64 v[234:235], v[158:159], s[2:3]
	v_mul_f64 v[240:241], v[152:153], s[26:27]
	v_add_f64 v[16:17], v[12:13], v[20:21]
	ds_load_b128 v[10:13], v229 offset:17408
	v_add_f64 v[14:15], v[14:15], v[22:23]
	s_waitcnt lgkmcnt(0)
	v_add_f64 v[18:19], v[6:7], -v[12:13]
	v_add_f64 v[20:21], v[4:5], v[10:11]
	v_add_f64 v[22:23], v[6:7], v[12:13]
	v_add_f64 v[24:25], v[4:5], -v[10:11]
	v_mov_b32_e32 v7, v73
	v_add_f64 v[160:161], v[16:17], v[10:11]
	v_add_f64 v[162:163], v[14:15], v[12:13]
	v_mul_f64 v[10:11], v[18:19], s[38:39]
	v_mul_f64 v[12:13], v[18:19], s[18:19]
	;; [unrolled: 1-line block ×14, first 2 shown]
	v_fma_f64 v[58:59], v[20:21], s[36:37], v[10:11]
	v_fma_f64 v[10:11], v[20:21], s[36:37], -v[10:11]
	v_fma_f64 v[60:61], v[20:21], s[34:35], v[12:13]
	v_fma_f64 v[12:13], v[20:21], s[34:35], -v[12:13]
	;; [unrolled: 2-line block ×8, first 2 shown]
	v_mul_f64 v[20:21], v[22:23], s[36:37]
	v_fma_f64 v[98:99], v[24:25], s[18:19], v[64:65]
	v_fma_f64 v[104:105], v[24:25], s[42:43], v[84:85]
	;; [unrolled: 1-line block ×5, first 2 shown]
	v_mul_f64 v[22:23], v[22:23], s[20:21]
	v_fma_f64 v[96:97], v[24:25], s[48:49], v[64:65]
	v_fma_f64 v[118:119], v[24:25], s[44:45], v[88:89]
	;; [unrolled: 1-line block ×7, first 2 shown]
	v_add_f64 v[4:5], v[0:1], v[10:11]
	v_add_f64 v[166:167], v[0:1], v[62:63]
	v_add_f64 v[192:193], v[0:1], v[66:67]
	v_add_f64 v[106:107], v[0:1], v[16:17]
	v_add_f64 v[196:197], v[0:1], v[68:69]
	v_add_f64 v[200:201], v[0:1], v[26:27]
	v_add_f64 v[204:205], v[0:1], v[70:71]
	v_add_f64 v[208:209], v[0:1], v[28:29]
	v_add_f64 v[212:213], v[0:1], v[80:81]
	v_add_f64 v[216:217], v[0:1], v[30:31]
	v_add_f64 v[226:227], v[0:1], v[82:83]
	v_add_f64 v[64:65], v[0:1], v[18:19]
	v_fma_f64 v[94:95], v[24:25], s[40:41], v[20:21]
	v_fma_f64 v[20:21], v[24:25], s[38:39], v[20:21]
	v_mul_f64 v[66:67], v[156:157], s[34:35]
	v_mul_f64 v[68:69], v[154:155], s[16:17]
	v_add_f64 v[168:169], v[2:3], v[104:105]
	v_add_f64 v[194:195], v[2:3], v[116:117]
	v_fma_f64 v[124:125], v[24:25], s[50:51], v[22:23]
	v_fma_f64 v[22:23], v[24:25], s[2:3], v[22:23]
	v_add_f64 v[24:25], v[0:1], v[58:59]
	v_add_f64 v[126:127], v[2:3], v[96:97]
	;; [unrolled: 1-line block ×8, first 2 shown]
	v_mul_f64 v[70:71], v[152:153], s[30:31]
	v_mul_f64 v[80:81], v[146:147], s[14:15]
	;; [unrolled: 1-line block ×7, first 2 shown]
	scratch_store_b64 off, v[4:5], off offset:28 ; 8-byte Folded Spill
	v_mul_f64 v[116:117], v[158:159], s[14:15]
	v_mul_f64 v[118:119], v[156:157], s[28:29]
	;; [unrolled: 1-line block ×6, first 2 shown]
	v_add_f64 v[94:95], v[2:3], v[94:95]
	v_add_f64 v[4:5], v[2:3], v[20:21]
	;; [unrolled: 1-line block ×5, first 2 shown]
	v_mul_f64 v[124:125], v[146:147], s[2:3]
	v_fma_f64 v[22:23], v[8:9], s[50:51], v[236:237]
	v_fma_f64 v[16:17], v[52:53], s[24:25], v[120:121]
	;; [unrolled: 1-line block ×3, first 2 shown]
	scratch_store_b64 off, v[4:5], off offset:36 ; 8-byte Folded Spill
	v_add_f64 v[4:5], v[0:1], v[12:13]
	v_fma_f64 v[12:13], v[52:53], s[30:31], v[68:69]
	v_add_f64 v[22:23], v[22:23], v[194:195]
	v_add_f64 v[26:27], v[26:27], v[198:199]
	scratch_store_b64 off, v[4:5], off offset:52 ; 8-byte Folded Spill
	v_add_f64 v[4:5], v[2:3], v[98:99]
	v_mul_f64 v[98:99], v[100:101], s[20:21]
	scratch_store_b64 off, v[4:5], off offset:44 ; 8-byte Folded Spill
	v_add_f64 v[4:5], v[0:1], v[14:15]
	v_fma_f64 v[14:15], v[8:9], s[54:55], v[118:119]
	scratch_store_b64 off, v[4:5], off offset:68 ; 8-byte Folded Spill
	v_add_f64 v[4:5], v[2:3], v[84:85]
	v_mul_f64 v[84:85], v[138:139], s[12:13]
	v_add_f64 v[14:15], v[14:15], v[126:127]
	v_mul_f64 v[126:127], v[144:145], s[20:21]
	scratch_store_b64 off, v[4:5], off offset:60 ; 8-byte Folded Spill
	v_add_f64 v[4:5], v[2:3], v[86:87]
	v_fma_f64 v[2:3], v[8:9], s[48:49], v[66:67]
	v_mul_f64 v[86:87], v[128:129], s[26:27]
	scratch_store_b64 off, v[4:5], off offset:76 ; 8-byte Folded Spill
	v_mul_f64 v[5:6], v[158:159], s[18:19]
	v_add_f64 v[2:3], v[2:3], v[94:95]
	v_mul_f64 v[94:95], v[108:109], s[22:23]
	v_mov_b32_e32 v4, v72
	v_mul_f64 v[72:73], v[108:109], s[36:37]
	v_fma_f64 v[0:1], v[56:57], s[34:35], v[5:6]
	s_delay_alu instid0(VALU_DEP_1) | instskip(SKIP_1) | instid1(VALU_DEP_2)
	v_add_f64 v[0:1], v[0:1], v[24:25]
	v_fma_f64 v[24:25], v[52:53], s[26:27], v[238:239]
	v_add_f64 v[0:1], v[12:13], v[0:1]
	v_fma_f64 v[12:13], v[54:55], s[42:43], v[70:71]
	s_delay_alu instid0(VALU_DEP_1) | instskip(SKIP_1) | instid1(VALU_DEP_1)
	v_add_f64 v[2:3], v[12:13], v[2:3]
	v_fma_f64 v[12:13], v[48:49], s[28:29], v[80:81]
	v_add_f64 v[0:1], v[12:13], v[0:1]
	v_fma_f64 v[12:13], v[50:51], s[54:55], v[82:83]
	s_delay_alu instid0(VALU_DEP_1) | instskip(SKIP_1) | instid1(VALU_DEP_1)
	v_add_f64 v[2:3], v[12:13], v[2:3]
	v_fma_f64 v[12:13], v[44:45], s[26:27], v[84:85]
	v_add_f64 v[0:1], v[12:13], v[0:1]
	v_fma_f64 v[12:13], v[46:47], s[44:45], v[86:87]
	s_delay_alu instid0(VALU_DEP_1) | instskip(SKIP_1) | instid1(VALU_DEP_1)
	v_add_f64 v[2:3], v[12:13], v[2:3]
	v_fma_f64 v[12:13], v[38:39], s[24:25], v[88:89]
	v_add_f64 v[0:1], v[12:13], v[0:1]
	v_fma_f64 v[12:13], v[42:43], s[52:53], v[90:91]
	s_delay_alu instid0(VALU_DEP_1) | instskip(SKIP_1) | instid1(VALU_DEP_1)
	v_add_f64 v[2:3], v[12:13], v[2:3]
	v_fma_f64 v[12:13], v[34:35], s[22:23], v[92:93]
	v_add_f64 v[0:1], v[12:13], v[0:1]
	v_fma_f64 v[12:13], v[36:37], s[46:47], v[94:95]
	s_delay_alu instid0(VALU_DEP_1) | instskip(SKIP_1) | instid1(VALU_DEP_1)
	v_add_f64 v[2:3], v[12:13], v[2:3]
	v_fma_f64 v[12:13], v[40:41], s[20:21], v[96:97]
	v_add_f64 v[60:61], v[12:13], v[0:1]
	v_fma_f64 v[12:13], v[32:33], s[50:51], v[98:99]
	v_mul_f64 v[0:1], v[112:113], s[28:29]
	s_delay_alu instid0(VALU_DEP_2) | instskip(SKIP_1) | instid1(VALU_DEP_3)
	v_add_f64 v[62:63], v[12:13], v[2:3]
	v_fma_f64 v[12:13], v[56:57], s[28:29], v[116:117]
	v_fma_f64 v[2:3], v[42:43], s[14:15], v[0:1]
	;; [unrolled: 1-line block ×3, first 2 shown]
	s_delay_alu instid0(VALU_DEP_3) | instskip(NEXT) | instid1(VALU_DEP_1)
	v_add_f64 v[12:13], v[12:13], v[20:21]
	v_add_f64 v[12:13], v[16:17], v[12:13]
	v_fma_f64 v[16:17], v[54:55], s[52:53], v[122:123]
	s_delay_alu instid0(VALU_DEP_1) | instskip(SKIP_1) | instid1(VALU_DEP_1)
	v_add_f64 v[14:15], v[16:17], v[14:15]
	v_fma_f64 v[16:17], v[48:49], s[20:21], v[124:125]
	v_add_f64 v[12:13], v[16:17], v[12:13]
	v_fma_f64 v[16:17], v[50:51], s[50:51], v[126:127]
	s_delay_alu instid0(VALU_DEP_1) | instskip(SKIP_1) | instid1(VALU_DEP_1)
	v_add_f64 v[14:15], v[16:17], v[14:15]
	v_fma_f64 v[16:17], v[44:45], s[22:23], v[130:131]
	;; [unrolled: 5-line block ×6, first 2 shown]
	v_add_f64 v[16:17], v[16:17], v[166:167]
	v_mul_f64 v[166:167], v[156:157], s[24:25]
	s_delay_alu instid0(VALU_DEP_1) | instskip(NEXT) | instid1(VALU_DEP_1)
	v_fma_f64 v[18:19], v[8:9], s[52:53], v[166:167]
	v_add_f64 v[18:19], v[18:19], v[168:169]
	v_mul_f64 v[168:169], v[154:155], s[50:51]
	s_delay_alu instid0(VALU_DEP_1) | instskip(NEXT) | instid1(VALU_DEP_1)
	v_fma_f64 v[20:21], v[52:53], s[20:21], v[168:169]
	v_add_f64 v[16:17], v[20:21], v[16:17]
	v_fma_f64 v[20:21], v[54:55], s[2:3], v[170:171]
	s_delay_alu instid0(VALU_DEP_1) | instskip(SKIP_1) | instid1(VALU_DEP_1)
	v_add_f64 v[18:19], v[20:21], v[18:19]
	v_fma_f64 v[20:21], v[48:49], s[26:27], v[172:173]
	v_add_f64 v[16:17], v[20:21], v[16:17]
	v_fma_f64 v[20:21], v[50:51], s[12:13], v[174:175]
	s_delay_alu instid0(VALU_DEP_1) | instskip(SKIP_1) | instid1(VALU_DEP_1)
	v_add_f64 v[18:19], v[20:21], v[18:19]
	;; [unrolled: 5-line block ×6, first 2 shown]
	v_fma_f64 v[20:21], v[56:57], s[20:21], v[234:235]
	v_add_f64 v[20:21], v[20:21], v[192:193]
	v_mul_f64 v[192:193], v[154:155], s[48:49]
	s_delay_alu instid0(VALU_DEP_2) | instskip(SKIP_1) | instid1(VALU_DEP_3)
	v_add_f64 v[20:21], v[24:25], v[20:21]
	v_fma_f64 v[24:25], v[54:55], s[12:13], v[240:241]
	v_fma_f64 v[194:195], v[52:53], s[34:35], v[192:193]
	s_delay_alu instid0(VALU_DEP_2) | instskip(SKIP_1) | instid1(VALU_DEP_1)
	v_add_f64 v[22:23], v[24:25], v[22:23]
	v_fma_f64 v[24:25], v[48:49], s[36:37], v[242:243]
	v_add_f64 v[20:21], v[24:25], v[20:21]
	v_fma_f64 v[24:25], v[50:51], s[38:39], v[244:245]
	s_delay_alu instid0(VALU_DEP_1) | instskip(SKIP_1) | instid1(VALU_DEP_1)
	v_add_f64 v[22:23], v[24:25], v[22:23]
	v_fma_f64 v[24:25], v[44:45], s[30:31], v[246:247]
	v_add_f64 v[20:21], v[24:25], v[20:21]
	v_fma_f64 v[24:25], v[46:47], s[42:43], v[248:249]
	s_delay_alu instid0(VALU_DEP_1) | instskip(SKIP_1) | instid1(VALU_DEP_1)
	;; [unrolled: 5-line block ×5, first 2 shown]
	v_add_f64 v[22:23], v[24:25], v[22:23]
	v_fma_f64 v[24:25], v[56:57], s[22:23], v[28:29]
	v_add_f64 v[24:25], v[24:25], v[196:197]
	s_delay_alu instid0(VALU_DEP_1) | instskip(SKIP_1) | instid1(VALU_DEP_1)
	v_add_f64 v[24:25], v[194:195], v[24:25]
	v_mul_f64 v[194:195], v[152:153], s[34:35]
	v_fma_f64 v[196:197], v[54:55], s[18:19], v[194:195]
	s_delay_alu instid0(VALU_DEP_1) | instskip(SKIP_1) | instid1(VALU_DEP_1)
	v_add_f64 v[26:27], v[196:197], v[26:27]
	v_mul_f64 v[196:197], v[146:147], s[16:17]
	v_fma_f64 v[198:199], v[48:49], s[30:31], v[196:197]
	;; [unrolled: 4-line block ×5, first 2 shown]
	s_delay_alu instid0(VALU_DEP_1) | instskip(SKIP_1) | instid1(VALU_DEP_2)
	v_add_f64 v[10:11], v[10:11], v[26:27]
	v_fma_f64 v[26:27], v[38:39], s[28:29], v[222:223]
	v_add_f64 v[2:3], v[2:3], v[10:11]
	v_mul_f64 v[10:11], v[110:111], s[38:39]
	s_delay_alu instid0(VALU_DEP_3) | instskip(NEXT) | instid1(VALU_DEP_2)
	v_add_f64 v[24:25], v[26:27], v[24:25]
	v_fma_f64 v[26:27], v[34:35], s[36:37], v[10:11]
	v_fma_f64 v[10:11], v[34:35], s[36:37], -v[10:11]
	s_delay_alu instid0(VALU_DEP_2) | instskip(SKIP_1) | instid1(VALU_DEP_1)
	v_add_f64 v[24:25], v[26:27], v[24:25]
	v_fma_f64 v[26:27], v[36:37], s[40:41], v[72:73]
	v_add_f64 v[2:3], v[26:27], v[2:3]
	v_fma_f64 v[26:27], v[40:41], s[24:25], v[232:233]
	s_delay_alu instid0(VALU_DEP_1) | instskip(SKIP_1) | instid1(VALU_DEP_1)
	v_add_f64 v[24:25], v[26:27], v[24:25]
	v_fma_f64 v[26:27], v[32:33], s[52:53], v[230:231]
	v_add_f64 v[26:27], v[26:27], v[2:3]
	v_fma_f64 v[2:3], v[56:57], s[22:23], -v[28:29]
	v_fma_f64 v[28:29], v[8:9], s[46:47], v[30:31]
	v_fma_f64 v[30:31], v[52:53], s[34:35], -v[192:193]
	s_delay_alu instid0(VALU_DEP_3) | instskip(NEXT) | instid1(VALU_DEP_3)
	v_add_f64 v[2:3], v[2:3], v[200:201]
	v_add_f64 v[28:29], v[28:29], v[202:203]
	v_mul_f64 v[200:201], v[144:145], s[22:23]
	v_mul_f64 v[202:203], v[138:139], s[54:55]
	s_delay_alu instid0(VALU_DEP_4) | instskip(SKIP_1) | instid1(VALU_DEP_1)
	v_add_f64 v[2:3], v[30:31], v[2:3]
	v_fma_f64 v[30:31], v[54:55], s[48:49], v[194:195]
	v_add_f64 v[28:29], v[30:31], v[28:29]
	v_fma_f64 v[30:31], v[48:49], s[30:31], -v[196:197]
	v_mul_f64 v[196:197], v[152:153], s[36:37]
	s_delay_alu instid0(VALU_DEP_2) | instskip(SKIP_2) | instid1(VALU_DEP_2)
	v_add_f64 v[2:3], v[30:31], v[2:3]
	v_fma_f64 v[30:31], v[50:51], s[16:17], v[198:199]
	v_mul_f64 v[198:199], v[146:147], s[6:7]
	v_add_f64 v[28:29], v[30:31], v[28:29]
	v_fma_f64 v[30:31], v[44:45], s[20:21], -v[78:79]
	v_mul_f64 v[78:79], v[154:155], s[38:39]
	s_delay_alu instid0(VALU_DEP_2) | instskip(SKIP_1) | instid1(VALU_DEP_3)
	v_add_f64 v[2:3], v[30:31], v[2:3]
	v_fma_f64 v[30:31], v[46:47], s[2:3], v[220:221]
	v_fma_f64 v[192:193], v[52:53], s[36:37], v[78:79]
	v_mul_f64 v[220:221], v[112:113], s[34:35]
	s_delay_alu instid0(VALU_DEP_3) | instskip(SKIP_2) | instid1(VALU_DEP_3)
	v_add_f64 v[28:29], v[30:31], v[28:29]
	v_fma_f64 v[30:31], v[38:39], s[28:29], -v[222:223]
	v_mul_f64 v[222:223], v[110:111], s[2:3]
	v_add_f64 v[0:1], v[0:1], v[28:29]
	s_delay_alu instid0(VALU_DEP_3) | instskip(SKIP_2) | instid1(VALU_DEP_3)
	v_add_f64 v[2:3], v[30:31], v[2:3]
	v_fma_f64 v[30:31], v[32:33], s[10:11], v[230:231]
	v_mul_f64 v[230:231], v[108:109], s[20:21]
	v_add_f64 v[2:3], v[10:11], v[2:3]
	v_fma_f64 v[10:11], v[36:37], s[38:39], v[72:73]
	s_delay_alu instid0(VALU_DEP_1) | instskip(SKIP_2) | instid1(VALU_DEP_3)
	v_add_f64 v[0:1], v[10:11], v[0:1]
	v_fma_f64 v[10:11], v[40:41], s[24:25], -v[232:233]
	v_mul_f64 v[232:233], v[102:103], s[42:43]
	v_add_f64 v[30:31], v[30:31], v[0:1]
	v_mul_f64 v[0:1], v[158:159], s[44:45]
	s_delay_alu instid0(VALU_DEP_4) | instskip(SKIP_1) | instid1(VALU_DEP_3)
	v_add_f64 v[28:29], v[10:11], v[2:3]
	v_mul_f64 v[10:11], v[156:157], s[26:27]
	v_fma_f64 v[2:3], v[56:57], s[26:27], v[0:1]
	v_fma_f64 v[0:1], v[56:57], s[26:27], -v[0:1]
	s_delay_alu instid0(VALU_DEP_3) | instskip(SKIP_1) | instid1(VALU_DEP_4)
	v_fma_f64 v[72:73], v[8:9], s[12:13], v[10:11]
	v_fma_f64 v[10:11], v[8:9], s[44:45], v[10:11]
	v_add_f64 v[2:3], v[2:3], v[204:205]
	v_mul_f64 v[204:205], v[128:129], s[28:29]
	s_delay_alu instid0(VALU_DEP_4)
	v_add_f64 v[72:73], v[72:73], v[206:207]
	v_mul_f64 v[206:207], v[114:115], s[18:19]
	v_add_f64 v[0:1], v[0:1], v[208:209]
	v_add_f64 v[10:11], v[10:11], v[210:211]
	v_mul_f64 v[208:209], v[144:145], s[24:25]
	v_mul_f64 v[210:211], v[138:139], s[38:39]
	;; [unrolled: 1-line block ×4, first 2 shown]
	v_add_f64 v[2:3], v[192:193], v[2:3]
	v_fma_f64 v[192:193], v[54:55], s[40:41], v[196:197]
	s_delay_alu instid0(VALU_DEP_1) | instskip(SKIP_1) | instid1(VALU_DEP_1)
	v_add_f64 v[72:73], v[192:193], v[72:73]
	v_fma_f64 v[192:193], v[48:49], s[22:23], v[198:199]
	v_add_f64 v[2:3], v[192:193], v[2:3]
	v_fma_f64 v[192:193], v[50:51], s[46:47], v[200:201]
	s_delay_alu instid0(VALU_DEP_1) | instskip(SKIP_1) | instid1(VALU_DEP_1)
	v_add_f64 v[72:73], v[192:193], v[72:73]
	v_fma_f64 v[192:193], v[44:45], s[28:29], v[202:203]
	;; [unrolled: 5-line block ×5, first 2 shown]
	v_add_f64 v[192:193], v[192:193], v[2:3]
	v_mul_f64 v[2:3], v[100:101], s[30:31]
	s_delay_alu instid0(VALU_DEP_1) | instskip(SKIP_1) | instid1(VALU_DEP_2)
	v_fma_f64 v[194:195], v[32:33], s[16:17], v[2:3]
	v_fma_f64 v[2:3], v[32:33], s[42:43], v[2:3]
	v_add_f64 v[194:195], v[194:195], v[72:73]
	v_fma_f64 v[72:73], v[52:53], s[36:37], -v[78:79]
	v_mul_f64 v[78:79], v[154:155], s[14:15]
	s_delay_alu instid0(VALU_DEP_2) | instskip(SKIP_1) | instid1(VALU_DEP_1)
	v_add_f64 v[0:1], v[72:73], v[0:1]
	v_fma_f64 v[72:73], v[54:55], s[38:39], v[196:197]
	v_add_f64 v[10:11], v[72:73], v[10:11]
	v_fma_f64 v[72:73], v[48:49], s[22:23], -v[198:199]
	s_delay_alu instid0(VALU_DEP_1) | instskip(SKIP_2) | instid1(VALU_DEP_2)
	v_add_f64 v[0:1], v[72:73], v[0:1]
	v_fma_f64 v[72:73], v[50:51], s[6:7], v[200:201]
	v_fma_f64 v[200:201], v[52:53], s[28:29], v[78:79]
	v_add_f64 v[10:11], v[72:73], v[10:11]
	v_fma_f64 v[72:73], v[44:45], s[28:29], -v[202:203]
	s_delay_alu instid0(VALU_DEP_1) | instskip(SKIP_2) | instid1(VALU_DEP_2)
	v_add_f64 v[0:1], v[72:73], v[0:1]
	v_fma_f64 v[72:73], v[46:47], s[54:55], v[204:205]
	v_mul_f64 v[204:205], v[152:153], s[28:29]
	v_add_f64 v[10:11], v[72:73], v[10:11]
	v_fma_f64 v[72:73], v[38:39], s[34:35], -v[206:207]
	v_mul_f64 v[206:207], v[146:147], s[52:53]
	v_mul_f64 v[146:147], v[146:147], s[48:49]
	s_delay_alu instid0(VALU_DEP_3) | instskip(SKIP_3) | instid1(VALU_DEP_3)
	v_add_f64 v[0:1], v[72:73], v[0:1]
	v_fma_f64 v[72:73], v[42:43], s[18:19], v[220:221]
	v_mul_f64 v[220:221], v[112:113], s[20:21]
	v_mul_f64 v[112:113], v[112:113], s[30:31]
	v_add_f64 v[10:11], v[72:73], v[10:11]
	v_fma_f64 v[72:73], v[34:35], s[20:21], -v[222:223]
	v_mul_f64 v[222:223], v[110:111], s[48:49]
	v_mul_f64 v[110:111], v[110:111], s[12:13]
	s_delay_alu instid0(VALU_DEP_3) | instskip(SKIP_3) | instid1(VALU_DEP_3)
	v_add_f64 v[0:1], v[72:73], v[0:1]
	v_fma_f64 v[72:73], v[36:37], s[2:3], v[230:231]
	v_mul_f64 v[230:231], v[108:109], s[34:35]
	v_mul_f64 v[108:109], v[108:109], s[26:27]
	v_add_f64 v[10:11], v[72:73], v[10:11]
	v_fma_f64 v[72:73], v[40:41], s[30:31], -v[232:233]
	v_mul_f64 v[232:233], v[102:103], s[12:13]
	s_delay_alu instid0(VALU_DEP_3) | instskip(NEXT) | instid1(VALU_DEP_3)
	v_add_f64 v[198:199], v[2:3], v[10:11]
	v_add_f64 v[196:197], v[72:73], v[0:1]
	v_mul_f64 v[0:1], v[158:159], s[42:43]
	v_mul_f64 v[10:11], v[156:157], s[30:31]
	s_delay_alu instid0(VALU_DEP_2) | instskip(NEXT) | instid1(VALU_DEP_2)
	v_fma_f64 v[2:3], v[56:57], s[30:31], v[0:1]
	v_fma_f64 v[72:73], v[8:9], s[16:17], v[10:11]
	v_fma_f64 v[0:1], v[56:57], s[30:31], -v[0:1]
	v_fma_f64 v[10:11], v[8:9], s[42:43], v[10:11]
	s_delay_alu instid0(VALU_DEP_4) | instskip(NEXT) | instid1(VALU_DEP_4)
	v_add_f64 v[2:3], v[2:3], v[212:213]
	v_add_f64 v[72:73], v[72:73], v[214:215]
	v_mul_f64 v[212:213], v[128:129], s[36:37]
	v_mul_f64 v[214:215], v[114:115], s[2:3]
	v_add_f64 v[0:1], v[0:1], v[216:217]
	v_add_f64 v[10:11], v[10:11], v[224:225]
	v_mul_f64 v[128:129], v[128:129], s[24:25]
	v_mul_f64 v[114:115], v[114:115], s[42:43]
	v_add_f64 v[2:3], v[200:201], v[2:3]
	v_fma_f64 v[200:201], v[54:55], s[54:55], v[204:205]
	s_delay_alu instid0(VALU_DEP_1) | instskip(SKIP_1) | instid1(VALU_DEP_1)
	v_add_f64 v[72:73], v[200:201], v[72:73]
	v_fma_f64 v[200:201], v[48:49], s[24:25], v[206:207]
	v_add_f64 v[2:3], v[200:201], v[2:3]
	v_fma_f64 v[200:201], v[50:51], s[10:11], v[208:209]
	s_delay_alu instid0(VALU_DEP_1) | instskip(SKIP_1) | instid1(VALU_DEP_1)
	v_add_f64 v[72:73], v[200:201], v[72:73]
	v_fma_f64 v[200:201], v[44:45], s[36:37], v[210:211]
	;; [unrolled: 5-line block ×5, first 2 shown]
	v_add_f64 v[200:201], v[200:201], v[2:3]
	v_mul_f64 v[2:3], v[100:101], s[26:27]
	s_delay_alu instid0(VALU_DEP_1) | instskip(SKIP_1) | instid1(VALU_DEP_2)
	v_fma_f64 v[202:203], v[32:33], s[44:45], v[2:3]
	v_fma_f64 v[2:3], v[32:33], s[12:13], v[2:3]
	v_add_f64 v[202:203], v[202:203], v[72:73]
	v_fma_f64 v[72:73], v[52:53], s[28:29], -v[78:79]
	s_delay_alu instid0(VALU_DEP_1) | instskip(SKIP_1) | instid1(VALU_DEP_1)
	v_add_f64 v[0:1], v[72:73], v[0:1]
	v_fma_f64 v[72:73], v[54:55], s[14:15], v[204:205]
	v_add_f64 v[10:11], v[72:73], v[10:11]
	v_fma_f64 v[72:73], v[48:49], s[24:25], -v[206:207]
	s_delay_alu instid0(VALU_DEP_1) | instskip(SKIP_1) | instid1(VALU_DEP_1)
	v_add_f64 v[0:1], v[72:73], v[0:1]
	v_fma_f64 v[72:73], v[50:51], s[52:53], v[208:209]
	v_add_f64 v[10:11], v[72:73], v[10:11]
	v_fma_f64 v[72:73], v[44:45], s[36:37], -v[210:211]
	s_delay_alu instid0(VALU_DEP_1) | instskip(SKIP_1) | instid1(VALU_DEP_1)
	v_add_f64 v[0:1], v[72:73], v[0:1]
	v_fma_f64 v[72:73], v[46:47], s[38:39], v[212:213]
	v_add_f64 v[10:11], v[72:73], v[10:11]
	v_fma_f64 v[72:73], v[38:39], s[20:21], -v[214:215]
	s_delay_alu instid0(VALU_DEP_1) | instskip(SKIP_2) | instid1(VALU_DEP_2)
	v_add_f64 v[0:1], v[72:73], v[0:1]
	v_fma_f64 v[72:73], v[42:43], s[2:3], v[220:221]
	v_mov_b32_e32 v221, v4
	v_add_f64 v[10:11], v[72:73], v[10:11]
	v_fma_f64 v[72:73], v[34:35], s[34:35], -v[222:223]
	v_mov_b32_e32 v222, v7
	s_delay_alu instid0(VALU_DEP_2) | instskip(SKIP_1) | instid1(VALU_DEP_1)
	v_add_f64 v[0:1], v[72:73], v[0:1]
	v_fma_f64 v[72:73], v[36:37], s[48:49], v[230:231]
	v_add_f64 v[10:11], v[72:73], v[10:11]
	v_fma_f64 v[72:73], v[40:41], s[26:27], -v[232:233]
	s_delay_alu instid0(VALU_DEP_2) | instskip(SKIP_1) | instid1(VALU_DEP_3)
	v_add_f64 v[206:207], v[2:3], v[10:11]
	v_mul_f64 v[10:11], v[156:157], s[36:37]
	v_add_f64 v[204:205], v[72:73], v[0:1]
	v_mul_f64 v[0:1], v[158:159], s[40:41]
	s_delay_alu instid0(VALU_DEP_3) | instskip(NEXT) | instid1(VALU_DEP_2)
	v_fma_f64 v[72:73], v[8:9], s[38:39], v[10:11]
	v_fma_f64 v[2:3], v[56:57], s[36:37], v[0:1]
	v_fma_f64 v[0:1], v[56:57], s[36:37], -v[0:1]
	s_delay_alu instid0(VALU_DEP_3) | instskip(SKIP_1) | instid1(VALU_DEP_4)
	v_add_f64 v[58:59], v[72:73], v[58:59]
	v_mul_f64 v[72:73], v[154:155], s[6:7]
	v_add_f64 v[2:3], v[2:3], v[226:227]
	v_mul_f64 v[154:155], v[100:101], s[28:29]
	v_add_f64 v[0:1], v[0:1], v[64:65]
	s_delay_alu instid0(VALU_DEP_4) | instskip(NEXT) | instid1(VALU_DEP_1)
	v_fma_f64 v[78:79], v[52:53], s[22:23], v[72:73]
	v_add_f64 v[2:3], v[78:79], v[2:3]
	v_mul_f64 v[78:79], v[152:153], s[22:23]
	s_delay_alu instid0(VALU_DEP_1) | instskip(NEXT) | instid1(VALU_DEP_1)
	v_fma_f64 v[152:153], v[54:55], s[46:47], v[78:79]
	v_add_f64 v[58:59], v[152:153], v[58:59]
	v_fma_f64 v[152:153], v[48:49], s[34:35], v[146:147]
	s_delay_alu instid0(VALU_DEP_1) | instskip(SKIP_1) | instid1(VALU_DEP_1)
	v_add_f64 v[2:3], v[152:153], v[2:3]
	v_fma_f64 v[152:153], v[50:51], s[18:19], v[144:145]
	v_add_f64 v[58:59], v[152:153], v[58:59]
	v_fma_f64 v[152:153], v[44:45], s[24:25], v[138:139]
	s_delay_alu instid0(VALU_DEP_1) | instskip(SKIP_1) | instid1(VALU_DEP_1)
	v_add_f64 v[2:3], v[152:153], v[2:3]
	;; [unrolled: 5-line block ×4, first 2 shown]
	v_fma_f64 v[152:153], v[36:37], s[44:45], v[108:109]
	v_add_f64 v[58:59], v[152:153], v[58:59]
	v_mul_f64 v[152:153], v[102:103], s[54:55]
	s_delay_alu instid0(VALU_DEP_1) | instskip(NEXT) | instid1(VALU_DEP_1)
	v_fma_f64 v[100:101], v[40:41], s[28:29], v[152:153]
	v_add_f64 v[100:101], v[100:101], v[2:3]
	v_fma_f64 v[2:3], v[32:33], s[14:15], v[154:155]
	s_delay_alu instid0(VALU_DEP_1) | instskip(SKIP_3) | instid1(VALU_DEP_3)
	v_add_f64 v[102:103], v[2:3], v[58:59]
	v_fma_f64 v[2:3], v[8:9], s[40:41], v[10:11]
	v_fma_f64 v[10:11], v[52:53], s[22:23], -v[72:73]
	v_fma_f64 v[58:59], v[32:33], s[54:55], v[154:155]
	v_add_f64 v[2:3], v[2:3], v[104:105]
	s_delay_alu instid0(VALU_DEP_3) | instskip(SKIP_1) | instid1(VALU_DEP_1)
	v_add_f64 v[0:1], v[10:11], v[0:1]
	v_fma_f64 v[10:11], v[54:55], s[6:7], v[78:79]
	v_add_f64 v[2:3], v[10:11], v[2:3]
	v_fma_f64 v[10:11], v[48:49], s[34:35], -v[146:147]
	s_delay_alu instid0(VALU_DEP_1) | instskip(SKIP_1) | instid1(VALU_DEP_1)
	v_add_f64 v[0:1], v[10:11], v[0:1]
	v_fma_f64 v[10:11], v[50:51], s[48:49], v[144:145]
	v_add_f64 v[2:3], v[10:11], v[2:3]
	v_fma_f64 v[10:11], v[44:45], s[24:25], -v[138:139]
	s_delay_alu instid0(VALU_DEP_1) | instskip(SKIP_1) | instid1(VALU_DEP_1)
	;; [unrolled: 5-line block ×4, first 2 shown]
	v_add_f64 v[0:1], v[10:11], v[0:1]
	v_fma_f64 v[10:11], v[36:37], s[12:13], v[108:109]
	v_add_f64 v[2:3], v[10:11], v[2:3]
	v_fma_f64 v[10:11], v[40:41], s[28:29], -v[152:153]
	s_delay_alu instid0(VALU_DEP_2) | instskip(NEXT) | instid1(VALU_DEP_2)
	v_add_f64 v[110:111], v[58:59], v[2:3]
	v_add_f64 v[108:109], v[10:11], v[0:1]
	scratch_load_b64 v[10:11], off, off offset:76 ; 8-byte Folded Reload
	v_fma_f64 v[0:1], v[56:57], s[20:21], -v[234:235]
	v_fma_f64 v[2:3], v[8:9], s[2:3], v[236:237]
	v_fma_f64 v[58:59], v[32:33], s[48:49], v[218:219]
	s_delay_alu instid0(VALU_DEP_3) | instskip(SKIP_1) | instid1(VALU_DEP_3)
	v_add_f64 v[0:1], v[0:1], v[106:107]
	s_waitcnt vmcnt(0)
	v_add_f64 v[2:3], v[2:3], v[10:11]
	v_fma_f64 v[10:11], v[52:53], s[26:27], -v[238:239]
	s_delay_alu instid0(VALU_DEP_1) | instskip(SKIP_1) | instid1(VALU_DEP_1)
	v_add_f64 v[0:1], v[10:11], v[0:1]
	v_fma_f64 v[10:11], v[54:55], s[44:45], v[240:241]
	v_add_f64 v[2:3], v[10:11], v[2:3]
	v_fma_f64 v[10:11], v[48:49], s[36:37], -v[242:243]
	s_delay_alu instid0(VALU_DEP_1) | instskip(SKIP_1) | instid1(VALU_DEP_1)
	v_add_f64 v[0:1], v[10:11], v[0:1]
	v_fma_f64 v[10:11], v[50:51], s[40:41], v[244:245]
	;; [unrolled: 5-line block ×5, first 2 shown]
	v_add_f64 v[2:3], v[10:11], v[2:3]
	v_fma_f64 v[10:11], v[40:41], s[34:35], -v[76:77]
	s_delay_alu instid0(VALU_DEP_2)
	v_add_f64 v[114:115], v[58:59], v[2:3]
	scratch_load_b64 v[2:3], off, off offset:68 ; 8-byte Folded Reload
	v_add_f64 v[112:113], v[10:11], v[0:1]
	scratch_load_b64 v[10:11], off, off offset:60 ; 8-byte Folded Reload
	v_fma_f64 v[0:1], v[56:57], s[24:25], -v[164:165]
	v_fma_f64 v[58:59], v[32:33], s[6:7], v[190:191]
	s_waitcnt vmcnt(1)
	s_delay_alu instid0(VALU_DEP_2) | instskip(SKIP_2) | instid1(VALU_DEP_1)
	v_add_f64 v[0:1], v[0:1], v[2:3]
	v_fma_f64 v[2:3], v[8:9], s[10:11], v[166:167]
	s_waitcnt vmcnt(0)
	v_add_f64 v[2:3], v[2:3], v[10:11]
	v_fma_f64 v[10:11], v[52:53], s[20:21], -v[168:169]
	s_delay_alu instid0(VALU_DEP_1) | instskip(SKIP_1) | instid1(VALU_DEP_1)
	v_add_f64 v[0:1], v[10:11], v[0:1]
	v_fma_f64 v[10:11], v[54:55], s[50:51], v[170:171]
	v_add_f64 v[2:3], v[10:11], v[2:3]
	v_fma_f64 v[10:11], v[48:49], s[26:27], -v[172:173]
	s_delay_alu instid0(VALU_DEP_1) | instskip(SKIP_1) | instid1(VALU_DEP_1)
	v_add_f64 v[0:1], v[10:11], v[0:1]
	v_fma_f64 v[10:11], v[50:51], s[44:45], v[174:175]
	;; [unrolled: 5-line block ×5, first 2 shown]
	v_add_f64 v[2:3], v[10:11], v[2:3]
	v_fma_f64 v[10:11], v[40:41], s[22:23], -v[188:189]
	s_delay_alu instid0(VALU_DEP_2)
	v_add_f64 v[106:107], v[58:59], v[2:3]
	scratch_load_b64 v[2:3], off, off offset:52 ; 8-byte Folded Reload
	v_add_f64 v[104:105], v[10:11], v[0:1]
	scratch_load_b64 v[10:11], off, off offset:44 ; 8-byte Folded Reload
	v_fma_f64 v[0:1], v[56:57], s[28:29], -v[116:117]
	v_fma_f64 v[58:59], v[32:33], s[40:41], v[150:151]
	s_waitcnt vmcnt(1)
	s_delay_alu instid0(VALU_DEP_2) | instskip(SKIP_2) | instid1(VALU_DEP_1)
	v_add_f64 v[0:1], v[0:1], v[2:3]
	v_fma_f64 v[2:3], v[8:9], s[14:15], v[118:119]
	s_waitcnt vmcnt(0)
	v_add_f64 v[2:3], v[2:3], v[10:11]
	v_fma_f64 v[10:11], v[52:53], s[24:25], -v[120:121]
	s_delay_alu instid0(VALU_DEP_1) | instskip(SKIP_1) | instid1(VALU_DEP_1)
	v_add_f64 v[0:1], v[10:11], v[0:1]
	v_fma_f64 v[10:11], v[54:55], s[10:11], v[122:123]
	v_add_f64 v[2:3], v[10:11], v[2:3]
	v_fma_f64 v[10:11], v[48:49], s[20:21], -v[124:125]
	s_delay_alu instid0(VALU_DEP_1) | instskip(SKIP_1) | instid1(VALU_DEP_1)
	v_add_f64 v[0:1], v[10:11], v[0:1]
	v_fma_f64 v[10:11], v[50:51], s[2:3], v[126:127]
	;; [unrolled: 5-line block ×5, first 2 shown]
	v_add_f64 v[2:3], v[10:11], v[2:3]
	v_fma_f64 v[10:11], v[40:41], s[36:37], -v[148:149]
	s_delay_alu instid0(VALU_DEP_2) | instskip(NEXT) | instid1(VALU_DEP_2)
	v_add_f64 v[118:119], v[58:59], v[2:3]
	v_add_f64 v[116:117], v[10:11], v[0:1]
	v_fma_f64 v[0:1], v[56:57], s[34:35], -v[5:6]
	scratch_load_b64 v[4:5], off, off offset:28 ; 8-byte Folded Reload
	v_fma_f64 v[2:3], v[8:9], s[18:19], v[66:67]
	v_fma_f64 v[8:9], v[52:53], s[30:31], -v[68:69]
	v_fma_f64 v[10:11], v[54:55], s[16:17], v[70:71]
	s_waitcnt vmcnt(0)
	v_add_f64 v[0:1], v[0:1], v[4:5]
	scratch_load_b64 v[4:5], off, off offset:36 ; 8-byte Folded Reload
	s_waitcnt vmcnt(0)
	s_waitcnt_vscnt null, 0x0
	s_barrier
	buffer_gl0_inv
	v_add_f64 v[0:1], v[8:9], v[0:1]
	v_fma_f64 v[8:9], v[48:49], s[28:29], -v[80:81]
	s_delay_alu instid0(VALU_DEP_1) | instskip(SKIP_1) | instid1(VALU_DEP_1)
	v_add_f64 v[0:1], v[8:9], v[0:1]
	v_fma_f64 v[8:9], v[44:45], s[26:27], -v[84:85]
	v_add_f64 v[0:1], v[8:9], v[0:1]
	v_fma_f64 v[8:9], v[38:39], s[24:25], -v[88:89]
                                        ; implicit-def: $vgpr38_vgpr39
	s_delay_alu instid0(VALU_DEP_1) | instskip(SKIP_1) | instid1(VALU_DEP_1)
	v_add_f64 v[0:1], v[8:9], v[0:1]
	v_fma_f64 v[8:9], v[34:35], s[22:23], -v[92:93]
	v_add_f64 v[0:1], v[8:9], v[0:1]
	v_fma_f64 v[8:9], v[40:41], s[20:21], -v[96:97]
	s_delay_alu instid0(VALU_DEP_1) | instskip(SKIP_1) | instid1(VALU_DEP_1)
	v_add_f64 v[8:9], v[8:9], v[0:1]
	v_mul_u32_u24_e32 v0, 0x110, v228
	v_add3_u32 v0, 0, v0, v221
	v_add_f64 v[2:3], v[2:3], v[4:5]
	s_delay_alu instid0(VALU_DEP_1) | instskip(SKIP_1) | instid1(VALU_DEP_1)
	v_add_f64 v[2:3], v[10:11], v[2:3]
	v_fma_f64 v[10:11], v[50:51], s[14:15], v[82:83]
	v_add_f64 v[2:3], v[10:11], v[2:3]
	v_fma_f64 v[10:11], v[46:47], s[12:13], v[86:87]
	s_delay_alu instid0(VALU_DEP_1) | instskip(SKIP_1) | instid1(VALU_DEP_1)
	v_add_f64 v[2:3], v[10:11], v[2:3]
	v_fma_f64 v[10:11], v[42:43], s[10:11], v[90:91]
	v_add_f64 v[2:3], v[10:11], v[2:3]
	v_fma_f64 v[10:11], v[36:37], s[6:7], v[94:95]
	s_delay_alu instid0(VALU_DEP_1) | instskip(SKIP_1) | instid1(VALU_DEP_1)
	v_add_f64 v[2:3], v[10:11], v[2:3]
	v_fma_f64 v[10:11], v[32:33], s[2:3], v[98:99]
	v_add_f64 v[10:11], v[10:11], v[2:3]
	ds_store_b128 v0, v[160:163]
	ds_store_b128 v0, v[60:63] offset:16
	ds_store_b128 v0, v[12:15] offset:32
	;; [unrolled: 1-line block ×16, first 2 shown]
	s_waitcnt lgkmcnt(0)
	s_barrier
	buffer_gl0_inv
	ds_load_b128 v[0:3], v7
	ds_load_b128 v[4:7], v229 offset:1088
	ds_load_b128 v[44:47], v229 offset:9248
	;; [unrolled: 1-line block ×15, first 2 shown]
	s_and_saveexec_b32 s1, s0
	s_cbranch_execz .LBB0_20
; %bb.19:
	ds_load_b128 v[8:11], v229 offset:8704
	ds_load_b128 v[36:39], v229 offset:17952
.LBB0_20:
	s_or_b32 exec_lo, exec_lo, s1
	v_add_nc_u16 v72, v228, 0x44
	v_add_nc_u16 v75, v228, 0x88
	v_add_nc_u32_e32 v73, 0xcc, v228
	v_and_b32_e32 v76, 0xff, v228
	v_add_nc_u32_e32 v74, 0x110, v228
	v_and_b32_e32 v77, 0xff, v72
	v_and_b32_e32 v80, 0xff, v75
	;; [unrolled: 1-line block ×3, first 2 shown]
	v_add_nc_u32_e32 v78, 0x154, v228
	v_mul_lo_u16 v76, 0xf1, v76
	v_mul_lo_u16 v77, 0xf1, v77
	;; [unrolled: 1-line block ×3, first 2 shown]
	v_add_nc_u32_e32 v81, 0x1dc, v228
	v_mul_u32_u24_e32 v82, 0xf0f1, v82
	v_add_nc_u32_e32 v79, 0x198, v228
	v_lshrrev_b16 v127, 12, v77
	v_lshrrev_b16 v128, 12, v80
	;; [unrolled: 1-line block ×3, first 2 shown]
	v_and_b32_e32 v76, 0xffff, v74
	v_and_b32_e32 v77, 0xffff, v78
	v_mul_lo_u16 v83, v127, 17
	v_mul_lo_u16 v85, v128, 17
	v_and_b32_e32 v90, 0xffff, v81
	v_lshrrev_b32_e32 v131, 20, v82
	v_and_b32_e32 v84, 0xffff, v79
	v_sub_nc_u16 v72, v72, v83
	v_sub_nc_u16 v75, v75, v85
	v_mul_u32_u24_e32 v76, 0xf0f1, v76
	v_mul_u32_u24_e32 v77, 0xf0f1, v77
	v_mul_lo_u16 v80, v126, 17
	v_and_b32_e32 v72, 0xff, v72
	v_and_b32_e32 v75, 0xff, v75
	v_mul_u32_u24_e32 v91, 0xf0f1, v84
	v_lshrrev_b32_e32 v132, 20, v76
	v_lshrrev_b32_e32 v134, 20, v77
	v_lshlrev_b32_e32 v130, 4, v72
	v_lshlrev_b32_e32 v133, 4, v75
	v_mul_u32_u24_e32 v72, 0xf0f1, v90
	v_mul_lo_u16 v75, v131, 17
	v_sub_nc_u16 v80, v228, v80
	v_lshrrev_b32_e32 v135, 20, v91
	v_mul_lo_u16 v76, v132, 17
	v_lshrrev_b32_e32 v136, 20, v72
	v_sub_nc_u16 v72, v73, v75
	v_mul_lo_u16 v73, v134, 17
	v_and_b32_e32 v80, 0xff, v80
	v_mul_lo_u16 v75, v135, 17
	v_sub_nc_u16 v74, v74, v76
	v_and_b32_e32 v72, 0xffff, v72
	v_sub_nc_u16 v73, v78, v73
	v_mul_lo_u16 v76, v136, 17
	v_lshlrev_b32_e32 v129, 4, v80
	v_sub_nc_u16 v75, v79, v75
	v_lshlrev_b32_e32 v137, 4, v72
	v_and_b32_e32 v74, 0xffff, v74
	v_and_b32_e32 v72, 0xffff, v73
	v_add_nc_u32_e32 v224, 0x220, v228
	v_sub_nc_u16 v76, v81, v76
	s_clause 0x3
	global_load_b128 v[82:85], v129, s[4:5]
	global_load_b128 v[86:89], v130, s[4:5]
	;; [unrolled: 1-line block ×4, first 2 shown]
	v_and_b32_e32 v73, 0xffff, v75
	v_lshlrev_b32_e32 v138, 4, v74
	v_lshlrev_b32_e32 v139, 4, v72
	v_and_b32_e32 v72, 0xffff, v224
	v_and_b32_e32 v74, 0xffff, v76
	v_lshlrev_b32_e32 v140, 4, v73
	s_clause 0x2
	global_load_b128 v[98:101], v138, s[4:5]
	global_load_b128 v[102:105], v139, s[4:5]
	;; [unrolled: 1-line block ×3, first 2 shown]
	v_mul_u32_u24_e32 v72, 0xf0f1, v72
	v_lshlrev_b32_e32 v141, 4, v74
	s_delay_alu instid0(VALU_DEP_2) | instskip(SKIP_2) | instid1(VALU_DEP_1)
	v_lshrrev_b32_e32 v80, 20, v72
	global_load_b128 v[110:113], v141, s[4:5]
	v_mul_lo_u16 v72, v80, 17
	v_sub_nc_u16 v72, v224, v72
	s_delay_alu instid0(VALU_DEP_1) | instskip(NEXT) | instid1(VALU_DEP_1)
	v_and_b32_e32 v81, 0xffff, v72
	v_lshlrev_b32_e32 v72, 4, v81
	global_load_b128 v[114:117], v72, s[4:5]
	s_waitcnt vmcnt(0) lgkmcnt(0)
	s_barrier
	buffer_gl0_inv
	v_mul_f64 v[72:73], v[46:47], v[84:85]
	v_mul_f64 v[74:75], v[44:45], v[84:85]
	;; [unrolled: 1-line block ×16, first 2 shown]
	v_fma_f64 v[44:45], v[44:45], v[82:83], v[72:73]
	v_fma_f64 v[46:47], v[46:47], v[82:83], -v[74:75]
	v_fma_f64 v[72:73], v[40:41], v[86:87], v[76:77]
	v_fma_f64 v[74:75], v[42:43], v[86:87], -v[78:79]
	;; [unrolled: 2-line block ×3, first 2 shown]
	v_fma_f64 v[76:77], v[48:49], v[94:95], v[92:93]
	v_mul_f64 v[90:91], v[38:39], v[116:117]
	v_mul_f64 v[92:93], v[36:37], v[116:117]
	v_fma_f64 v[78:79], v[50:51], v[94:95], -v[96:97]
	v_fma_f64 v[60:61], v[60:61], v[98:99], v[118:119]
	v_fma_f64 v[62:63], v[62:63], v[98:99], -v[100:101]
	v_fma_f64 v[82:83], v[56:57], v[102:103], v[120:121]
	;; [unrolled: 2-line block ×4, first 2 shown]
	v_fma_f64 v[88:89], v[66:67], v[110:111], -v[112:113]
	v_add_f64 v[40:41], v[0:1], -v[44:45]
	v_add_f64 v[42:43], v[2:3], -v[46:47]
	;; [unrolled: 1-line block ×7, first 2 shown]
	v_fma_f64 v[72:73], v[36:37], v[114:115], v[90:91]
	v_fma_f64 v[74:75], v[38:39], v[114:115], -v[92:93]
	v_add_f64 v[54:55], v[18:19], -v[78:79]
	v_add_f64 v[56:57], v[20:21], -v[60:61]
	;; [unrolled: 1-line block ×7, first 2 shown]
	v_and_b32_e32 v76, 0xffff, v126
	v_mad_u32_u24 v77, 0x220, v134, 0
	v_mad_u32_u24 v78, 0x220, v135, 0
	;; [unrolled: 1-line block ×3, first 2 shown]
	v_add_f64 v[68:69], v[32:33], -v[86:87]
	v_add_f64 v[70:71], v[34:35], -v[88:89]
	v_add3_u32 v77, v77, v139, v221
	v_add3_u32 v78, v78, v140, v221
	v_add3_u32 v79, v79, v141, v221
	v_fma_f64 v[36:37], v[0:1], 2.0, -v[40:41]
	v_fma_f64 v[38:39], v[2:3], 2.0, -v[42:43]
	;; [unrolled: 1-line block ×7, first 2 shown]
	v_add_f64 v[0:1], v[8:9], -v[72:73]
	v_add_f64 v[2:3], v[10:11], -v[74:75]
	v_fma_f64 v[18:19], v[18:19], 2.0, -v[54:55]
	v_fma_f64 v[20:21], v[20:21], 2.0, -v[56:57]
	;; [unrolled: 1-line block ×7, first 2 shown]
	v_and_b32_e32 v73, 0xffff, v127
	v_and_b32_e32 v74, 0xffff, v128
	v_mad_u32_u24 v72, 0x220, v76, 0
	v_mad_u32_u24 v75, 0x220, v131, 0
	v_fma_f64 v[32:33], v[32:33], 2.0, -v[68:69]
	v_fma_f64 v[34:35], v[34:35], 2.0, -v[70:71]
	v_mad_u32_u24 v73, 0x220, v73, 0
	v_mad_u32_u24 v74, 0x220, v74, 0
	;; [unrolled: 1-line block ×3, first 2 shown]
	v_add3_u32 v72, v72, v129, v221
	v_add3_u32 v75, v75, v137, v221
	;; [unrolled: 1-line block ×5, first 2 shown]
	ds_store_b128 v72, v[36:39]
	ds_store_b128 v72, v[40:43] offset:272
	ds_store_b128 v73, v[4:7]
	ds_store_b128 v73, v[44:47] offset:272
	;; [unrolled: 2-line block ×8, first 2 shown]
	s_and_saveexec_b32 s1, s0
	s_cbranch_execz .LBB0_22
; %bb.21:
	v_fma_f64 v[6:7], v[10:11], 2.0, -v[2:3]
	v_fma_f64 v[4:5], v[8:9], 2.0, -v[0:1]
	v_mul_lo_u16 v8, v80, 34
	v_lshl_add_u32 v9, v81, 4, 0
	s_delay_alu instid0(VALU_DEP_2) | instskip(NEXT) | instid1(VALU_DEP_1)
	v_and_b32_e32 v8, 0xffff, v8
	v_lshlrev_b32_e32 v8, 4, v8
	s_delay_alu instid0(VALU_DEP_1)
	v_add3_u32 v8, v9, v8, v221
	ds_store_b128 v8, v[4:7]
	ds_store_b128 v8, v[0:3] offset:272
.LBB0_22:
	s_or_b32 exec_lo, exec_lo, s1
	v_subrev_nc_u32_e32 v80, 34, v228
	s_waitcnt lgkmcnt(0)
	s_barrier
	buffer_gl0_inv
	s_mov_b32 s42, 0x5d8e7cdc
	v_cndmask_b32_e64 v4, v80, v228, s0
	v_mov_b32_e32 v45, 0
	s_mov_b32 s40, 0x2a9d6da3
	s_mov_b32 s38, 0x7c9e640b
	;; [unrolled: 1-line block ×3, first 2 shown]
	v_lshlrev_b32_e32 v44, 4, v4
	s_mov_b32 s6, 0x923c349f
	s_mov_b32 s16, 0x6c9a05f6
	;; [unrolled: 1-line block ×4, first 2 shown]
	v_lshlrev_b64 v[4:5], 4, v[44:45]
	s_mov_b32 s43, 0xbfd71e95
	s_mov_b32 s41, 0xbfe58eea
	;; [unrolled: 1-line block ×5, first 2 shown]
	v_add_co_u32 v24, s1, s4, v4
	s_delay_alu instid0(VALU_DEP_1)
	v_add_co_ci_u32_e64 v25, s1, s5, v5, s1
	s_mov_b32 s17, 0xbfe9895b
	s_mov_b32 s23, 0xbfe0d888
	;; [unrolled: 1-line block ×3, first 2 shown]
	s_clause 0x3
	global_load_b128 v[16:19], v[24:25], off offset:272
	global_load_b128 v[12:15], v[24:25], off offset:288
	;; [unrolled: 1-line block ×4, first 2 shown]
	ds_load_b128 v[20:23], v229 offset:1088
	ds_load_b128 v[119:122], v222
	ds_load_b128 v[26:29], v229 offset:2176
	s_mov_b32 s50, 0x7faef3
	s_mov_b32 s51, 0xbfef7484
	;; [unrolled: 1-line block ×31, first 2 shown]
	v_cmp_lt_u32_e64 s1, 33, v228
	s_waitcnt vmcnt(3) lgkmcnt(2)
	v_mul_f64 v[30:31], v[22:23], v[18:19]
	v_mul_f64 v[18:19], v[20:21], v[18:19]
	s_delay_alu instid0(VALU_DEP_2) | instskip(NEXT) | instid1(VALU_DEP_2)
	v_fma_f64 v[20:21], v[20:21], v[16:17], v[30:31]
	v_fma_f64 v[22:23], v[22:23], v[16:17], -v[18:19]
	ds_load_b128 v[16:19], v229 offset:3264
	s_waitcnt vmcnt(2) lgkmcnt(1)
	v_mul_f64 v[30:31], v[28:29], v[14:15]
	v_mul_f64 v[14:15], v[26:27], v[14:15]
	v_add_f64 v[117:118], v[121:122], v[22:23]
	s_delay_alu instid0(VALU_DEP_3) | instskip(NEXT) | instid1(VALU_DEP_3)
	v_fma_f64 v[45:46], v[26:27], v[12:13], v[30:31]
	v_fma_f64 v[47:48], v[28:29], v[12:13], -v[14:15]
	s_waitcnt vmcnt(1) lgkmcnt(0)
	v_mul_f64 v[14:15], v[18:19], v[10:11]
	v_mul_f64 v[26:27], v[16:17], v[10:11]
	ds_load_b128 v[10:13], v229 offset:4352
	v_fma_f64 v[49:50], v[16:17], v[8:9], v[14:15]
	ds_load_b128 v[14:17], v229 offset:5440
	v_fma_f64 v[51:52], v[18:19], v[8:9], -v[26:27]
	s_waitcnt vmcnt(0) lgkmcnt(1)
	v_mul_f64 v[8:9], v[12:13], v[6:7]
	v_mul_f64 v[6:7], v[10:11], v[6:7]
	s_delay_alu instid0(VALU_DEP_2) | instskip(NEXT) | instid1(VALU_DEP_2)
	v_fma_f64 v[53:54], v[10:11], v[4:5], v[8:9]
	v_fma_f64 v[55:56], v[12:13], v[4:5], -v[6:7]
	s_clause 0x1
	global_load_b128 v[4:7], v[24:25], off offset:336
	global_load_b128 v[8:11], v[24:25], off offset:352
	s_waitcnt vmcnt(1) lgkmcnt(0)
	v_mul_f64 v[12:13], v[16:17], v[6:7]
	v_mul_f64 v[6:7], v[14:15], v[6:7]
	s_delay_alu instid0(VALU_DEP_2) | instskip(NEXT) | instid1(VALU_DEP_2)
	v_fma_f64 v[57:58], v[14:15], v[4:5], v[12:13]
	v_fma_f64 v[59:60], v[16:17], v[4:5], -v[6:7]
	ds_load_b128 v[4:7], v229 offset:6528
	ds_load_b128 v[12:15], v229 offset:7616
	s_waitcnt vmcnt(0) lgkmcnt(1)
	v_mul_f64 v[16:17], v[6:7], v[10:11]
	s_delay_alu instid0(VALU_DEP_1) | instskip(SKIP_1) | instid1(VALU_DEP_1)
	v_fma_f64 v[61:62], v[4:5], v[8:9], v[16:17]
	v_mul_f64 v[4:5], v[4:5], v[10:11]
	v_fma_f64 v[63:64], v[6:7], v[8:9], -v[4:5]
	s_clause 0x1
	global_load_b128 v[4:7], v[24:25], off offset:368
	global_load_b128 v[8:11], v[24:25], off offset:384
	s_waitcnt vmcnt(1) lgkmcnt(0)
	v_mul_f64 v[16:17], v[14:15], v[6:7]
	v_mul_f64 v[6:7], v[12:13], v[6:7]
	s_delay_alu instid0(VALU_DEP_2) | instskip(NEXT) | instid1(VALU_DEP_2)
	v_fma_f64 v[65:66], v[12:13], v[4:5], v[16:17]
	v_fma_f64 v[67:68], v[14:15], v[4:5], -v[6:7]
	ds_load_b128 v[4:7], v229 offset:8704
	ds_load_b128 v[12:15], v229 offset:9792
	s_waitcnt vmcnt(0) lgkmcnt(1)
	v_mul_f64 v[16:17], v[6:7], v[10:11]
	s_delay_alu instid0(VALU_DEP_1) | instskip(SKIP_1) | instid1(VALU_DEP_1)
	v_fma_f64 v[69:70], v[4:5], v[8:9], v[16:17]
	v_mul_f64 v[4:5], v[4:5], v[10:11]
	v_fma_f64 v[81:82], v[6:7], v[8:9], -v[4:5]
	s_clause 0x1
	global_load_b128 v[4:7], v[24:25], off offset:400
	global_load_b128 v[8:11], v[24:25], off offset:416
	s_waitcnt vmcnt(1) lgkmcnt(0)
	v_mul_f64 v[16:17], v[14:15], v[6:7]
	v_mul_f64 v[6:7], v[12:13], v[6:7]
	s_delay_alu instid0(VALU_DEP_2) | instskip(NEXT) | instid1(VALU_DEP_2)
	v_fma_f64 v[83:84], v[12:13], v[4:5], v[16:17]
	v_fma_f64 v[85:86], v[14:15], v[4:5], -v[6:7]
	ds_load_b128 v[4:7], v229 offset:10880
	ds_load_b128 v[12:15], v229 offset:11968
	s_waitcnt vmcnt(0) lgkmcnt(1)
	v_mul_f64 v[16:17], v[6:7], v[10:11]
	v_add_f64 v[203:204], v[69:70], v[83:84]
	v_add_f64 v[211:212], v[81:82], -v[85:86]
	v_add_f64 v[213:214], v[81:82], v[85:86]
	v_add_f64 v[209:210], v[69:70], -v[83:84]
	v_fma_f64 v[87:88], v[4:5], v[8:9], v[16:17]
	v_mul_f64 v[4:5], v[4:5], v[10:11]
	s_delay_alu instid0(VALU_DEP_2) | instskip(NEXT) | instid1(VALU_DEP_2)
	v_add_f64 v[191:192], v[65:66], v[87:88]
	v_fma_f64 v[89:90], v[6:7], v[8:9], -v[4:5]
	s_clause 0x1
	global_load_b128 v[4:7], v[24:25], off offset:432
	global_load_b128 v[8:11], v[24:25], off offset:448
	v_add_f64 v[193:194], v[65:66], -v[87:88]
	v_add_f64 v[199:200], v[67:68], -v[89:90]
	v_add_f64 v[201:202], v[67:68], v[89:90]
	s_waitcnt vmcnt(1) lgkmcnt(0)
	v_mul_f64 v[16:17], v[14:15], v[6:7]
	v_mul_f64 v[6:7], v[12:13], v[6:7]
	s_delay_alu instid0(VALU_DEP_2) | instskip(NEXT) | instid1(VALU_DEP_2)
	v_fma_f64 v[91:92], v[12:13], v[4:5], v[16:17]
	v_fma_f64 v[93:94], v[14:15], v[4:5], -v[6:7]
	ds_load_b128 v[4:7], v229 offset:13056
	ds_load_b128 v[12:15], v229 offset:14144
	s_waitcnt vmcnt(0) lgkmcnt(1)
	v_mul_f64 v[16:17], v[6:7], v[10:11]
	v_add_f64 v[179:180], v[61:62], v[91:92]
	v_add_f64 v[187:188], v[63:64], -v[93:94]
	v_add_f64 v[189:190], v[63:64], v[93:94]
	v_add_f64 v[181:182], v[61:62], -v[91:92]
	v_fma_f64 v[95:96], v[4:5], v[8:9], v[16:17]
	v_mul_f64 v[4:5], v[4:5], v[10:11]
	v_mul_f64 v[215:216], v[187:188], s[16:17]
	;; [unrolled: 1-line block ×3, first 2 shown]
	s_delay_alu instid0(VALU_DEP_4) | instskip(NEXT) | instid1(VALU_DEP_4)
	v_add_f64 v[171:172], v[57:58], v[95:96]
	v_fma_f64 v[97:98], v[6:7], v[8:9], -v[4:5]
	s_clause 0x1
	global_load_b128 v[4:7], v[24:25], off offset:464
	global_load_b128 v[8:11], v[24:25], off offset:480
	v_add_f64 v[173:174], v[57:58], -v[95:96]
	v_add_f64 v[175:176], v[59:60], -v[97:98]
	v_add_f64 v[177:178], v[59:60], v[97:98]
	s_delay_alu instid0(VALU_DEP_2) | instskip(NEXT) | instid1(VALU_DEP_2)
	v_mul_f64 v[205:206], v[175:176], s[6:7]
	v_mul_f64 v[207:208], v[177:178], s[12:13]
	s_waitcnt vmcnt(1) lgkmcnt(0)
	v_mul_f64 v[16:17], v[14:15], v[6:7]
	v_mul_f64 v[6:7], v[12:13], v[6:7]
	s_delay_alu instid0(VALU_DEP_2) | instskip(NEXT) | instid1(VALU_DEP_2)
	v_fma_f64 v[99:100], v[12:13], v[4:5], v[16:17]
	v_fma_f64 v[101:102], v[14:15], v[4:5], -v[6:7]
	ds_load_b128 v[4:7], v229 offset:15232
	ds_load_b128 v[12:15], v229 offset:16320
	s_waitcnt vmcnt(0) lgkmcnt(1)
	v_mul_f64 v[16:17], v[6:7], v[10:11]
	s_delay_alu instid0(VALU_DEP_1) | instskip(SKIP_1) | instid1(VALU_DEP_1)
	v_fma_f64 v[103:104], v[4:5], v[8:9], v[16:17]
	v_mul_f64 v[4:5], v[4:5], v[10:11]
	v_fma_f64 v[105:106], v[6:7], v[8:9], -v[4:5]
	s_clause 0x1
	global_load_b128 v[4:7], v[24:25], off offset:496
	global_load_b128 v[8:11], v[24:25], off offset:512
	s_waitcnt vmcnt(1) lgkmcnt(0)
	v_mul_f64 v[16:17], v[14:15], v[6:7]
	v_mul_f64 v[6:7], v[12:13], v[6:7]
	s_delay_alu instid0(VALU_DEP_2) | instskip(NEXT) | instid1(VALU_DEP_2)
	v_fma_f64 v[107:108], v[12:13], v[4:5], v[16:17]
	v_fma_f64 v[109:110], v[14:15], v[4:5], -v[6:7]
	ds_load_b128 v[4:7], v229 offset:17408
	s_waitcnt vmcnt(0) lgkmcnt(0)
	s_barrier
	buffer_gl0_inv
	v_mul_f64 v[12:13], v[4:5], v[10:11]
	s_delay_alu instid0(VALU_DEP_1) | instskip(SKIP_1) | instid1(VALU_DEP_1)
	v_fma_f64 v[111:112], v[6:7], v[8:9], -v[12:13]
	v_mul_f64 v[6:7], v[6:7], v[10:11]
	v_fma_f64 v[113:114], v[4:5], v[8:9], v[6:7]
	s_delay_alu instid0(VALU_DEP_3) | instskip(NEXT) | instid1(VALU_DEP_2)
	v_add_f64 v[4:5], v[22:23], -v[111:112]
	v_add_f64 v[24:25], v[20:21], v[113:114]
	s_delay_alu instid0(VALU_DEP_2)
	v_mul_f64 v[6:7], v[4:5], s[42:43]
	v_mul_f64 v[8:9], v[4:5], s[40:41]
	;; [unrolled: 1-line block ×8, first 2 shown]
	v_add_f64 v[115:116], v[20:21], -v[113:114]
	v_fma_f64 v[26:27], v[24:25], s[20:21], v[6:7]
	v_fma_f64 v[6:7], v[24:25], s[20:21], -v[6:7]
	v_fma_f64 v[28:29], v[24:25], s[14:15], v[8:9]
	v_fma_f64 v[8:9], v[24:25], s[14:15], -v[8:9]
	v_fma_f64 v[30:31], v[24:25], s[10:11], v[10:11]
	v_fma_f64 v[71:72], v[24:25], s[18:19], v[16:17]
	v_fma_f64 v[73:74], v[24:25], s[18:19], -v[16:17]
	v_fma_f64 v[123:124], v[24:25], s[50:51], v[4:5]
	v_fma_f64 v[125:126], v[24:25], s[50:51], -v[4:5]
	v_add_f64 v[4:5], v[22:23], v[111:112]
	v_fma_f64 v[10:11], v[24:25], s[10:11], -v[10:11]
	v_fma_f64 v[32:33], v[24:25], s[2:3], v[12:13]
	v_fma_f64 v[36:37], v[24:25], s[2:3], -v[12:13]
	v_fma_f64 v[38:39], v[24:25], s[12:13], v[14:15]
	;; [unrolled: 2-line block ×3, first 2 shown]
	v_fma_f64 v[77:78], v[24:25], s[26:27], -v[18:19]
	v_add_f64 v[163:164], v[119:120], v[26:27]
	v_add_f64 v[6:7], v[119:120], v[6:7]
	;; [unrolled: 1-line block ×5, first 2 shown]
	v_mul_f64 v[16:17], v[4:5], s[10:11]
	v_mul_f64 v[12:13], v[4:5], s[20:21]
	;; [unrolled: 1-line block ×8, first 2 shown]
	v_add_f64 v[22:23], v[119:120], v[10:11]
	v_add_f64 v[30:31], v[119:120], v[36:37]
	;; [unrolled: 1-line block ×3, first 2 shown]
	v_fma_f64 v[135:136], v[115:116], s[38:39], v[16:17]
	v_fma_f64 v[127:128], v[115:116], s[36:37], v[12:13]
	;; [unrolled: 1-line block ×16, first 2 shown]
	v_add_f64 v[115:116], v[119:120], v[20:21]
	v_add_f64 v[18:19], v[119:120], v[28:29]
	;; [unrolled: 1-line block ×6, first 2 shown]
	v_add_f64 v[135:136], v[47:48], -v[109:110]
	v_add_f64 v[4:5], v[121:122], v[12:13]
	v_add_f64 v[16:17], v[121:122], v[129:130]
	;; [unrolled: 1-line block ×11, first 2 shown]
	v_add_f64 v[155:156], v[51:52], -v[105:106]
	v_add_f64 v[40:41], v[121:122], v[143:144]
	v_add_f64 v[141:142], v[119:120], v[75:76]
	v_add_f64 v[133:134], v[119:120], v[77:78]
	v_add_f64 v[131:132], v[121:122], v[157:158]
	v_add_f64 v[119:120], v[119:120], v[125:126]
	v_add_f64 v[125:126], v[45:46], -v[107:108]
	v_add_f64 v[143:144], v[49:50], v[103:104]
	v_add_f64 v[157:158], v[51:52], v[105:106]
	;; [unrolled: 1-line block ×5, first 2 shown]
	v_add_f64 v[149:150], v[49:50], -v[103:104]
	v_add_f64 v[127:128], v[121:122], v[159:160]
	v_add_f64 v[159:160], v[53:54], v[99:100]
	;; [unrolled: 1-line block ×3, first 2 shown]
	v_add_f64 v[161:162], v[53:54], -v[99:100]
	v_add_f64 v[45:46], v[115:116], v[45:46]
	v_add_f64 v[47:48], v[117:118], v[47:48]
	v_mul_f64 v[167:168], v[135:136], s[40:41]
	v_mul_f64 v[169:170], v[137:138], s[14:15]
	;; [unrolled: 1-line block ×4, first 2 shown]
	v_add_f64 v[45:46], v[45:46], v[49:50]
	v_add_f64 v[47:48], v[47:48], v[51:52]
	v_cndmask_b32_e64 v49, 0, 0x2420, s1
	s_delay_alu instid0(VALU_DEP_1) | instskip(SKIP_2) | instid1(VALU_DEP_3)
	v_add_nc_u32_e32 v49, 0, v49
	v_fma_f64 v[8:9], v[123:124], s[14:15], v[167:168]
	v_fma_f64 v[167:168], v[123:124], s[14:15], -v[167:168]
	v_add3_u32 v44, v49, v44, v221
	v_fma_f64 v[10:11], v[125:126], s[34:35], v[169:170]
	v_fma_f64 v[71:72], v[143:144], s[10:11], v[183:184]
	v_add_f64 v[45:46], v[45:46], v[53:54]
	v_add_f64 v[47:48], v[47:48], v[55:56]
	;; [unrolled: 1-line block ×3, first 2 shown]
	v_add_f64 v[163:164], v[55:56], -v[101:102]
	v_add_f64 v[6:7], v[167:168], v[6:7]
	v_fma_f64 v[167:168], v[125:126], s[40:41], v[169:170]
	v_add_f64 v[10:11], v[10:11], v[165:166]
	v_add_f64 v[165:166], v[55:56], v[101:102]
	;; [unrolled: 1-line block ×5, first 2 shown]
	v_fma_f64 v[71:72], v[149:150], s[30:31], v[185:186]
	v_mul_f64 v[195:196], v[163:164], s[24:25]
	v_add_f64 v[4:5], v[167:168], v[4:5]
	v_fma_f64 v[167:168], v[143:144], s[10:11], -v[183:184]
	v_mul_f64 v[197:198], v[165:166], s[2:3]
	v_add_f64 v[45:46], v[45:46], v[61:62]
	v_add_f64 v[47:48], v[47:48], v[63:64]
	v_add_f64 v[10:11], v[71:72], v[10:11]
	v_fma_f64 v[71:72], v[159:160], s[2:3], v[195:196]
	v_add_f64 v[6:7], v[167:168], v[6:7]
	v_fma_f64 v[167:168], v[149:150], s[38:39], v[185:186]
	v_add_f64 v[45:46], v[45:46], v[65:66]
	v_add_f64 v[47:48], v[47:48], v[67:68]
	v_add_f64 v[8:9], v[71:72], v[8:9]
	v_fma_f64 v[71:72], v[161:162], s[28:29], v[197:198]
	v_add_f64 v[4:5], v[167:168], v[4:5]
	v_fma_f64 v[167:168], v[159:160], s[2:3], -v[195:196]
	v_add_f64 v[45:46], v[45:46], v[69:70]
	v_add_f64 v[47:48], v[47:48], v[81:82]
	v_add_f64 v[10:11], v[71:72], v[10:11]
	v_fma_f64 v[71:72], v[171:172], s[12:13], v[205:206]
	v_add_f64 v[6:7], v[167:168], v[6:7]
	v_fma_f64 v[167:168], v[161:162], s[24:25], v[197:198]
	v_add_f64 v[45:46], v[45:46], v[83:84]
	v_add_f64 v[47:48], v[47:48], v[85:86]
	v_add_f64 v[8:9], v[71:72], v[8:9]
	v_fma_f64 v[71:72], v[173:174], s[44:45], v[207:208]
	v_add_f64 v[4:5], v[167:168], v[4:5]
	v_fma_f64 v[167:168], v[171:172], s[12:13], -v[205:206]
	;; [unrolled: 12-line block ×3, first 2 shown]
	v_add_f64 v[45:46], v[45:46], v[95:96]
	v_add_f64 v[47:48], v[47:48], v[97:98]
	;; [unrolled: 1-line block ×3, first 2 shown]
	v_mul_f64 v[71:72], v[199:200], s[22:23]
	v_add_f64 v[6:7], v[167:168], v[6:7]
	v_fma_f64 v[167:168], v[181:182], s[16:17], v[217:218]
	v_mul_f64 v[217:218], v[211:212], s[36:37]
	v_add_f64 v[45:46], v[45:46], v[99:100]
	v_add_f64 v[47:48], v[47:48], v[101:102]
	v_fma_f64 v[73:74], v[191:192], s[26:27], v[71:72]
	v_fma_f64 v[71:72], v[191:192], s[26:27], -v[71:72]
	v_add_f64 v[4:5], v[167:168], v[4:5]
	v_add_f64 v[45:46], v[45:46], v[103:104]
	;; [unrolled: 1-line block ×4, first 2 shown]
	v_mul_f64 v[73:74], v[201:202], s[26:27]
	v_add_f64 v[6:7], v[71:72], v[6:7]
	v_add_f64 v[45:46], v[45:46], v[107:108]
	;; [unrolled: 1-line block ×3, first 2 shown]
	s_delay_alu instid0(VALU_DEP_4) | instskip(SKIP_1) | instid1(VALU_DEP_4)
	v_fma_f64 v[75:76], v[193:194], s[52:53], v[73:74]
	v_fma_f64 v[71:72], v[193:194], s[22:23], v[73:74]
	v_add_f64 v[45:46], v[45:46], v[113:114]
	s_delay_alu instid0(VALU_DEP_4) | instskip(NEXT) | instid1(VALU_DEP_4)
	v_add_f64 v[47:48], v[47:48], v[111:112]
	v_add_f64 v[10:11], v[75:76], v[10:11]
	v_mul_f64 v[75:76], v[211:212], s[48:49]
	v_add_f64 v[71:72], v[71:72], v[4:5]
	s_delay_alu instid0(VALU_DEP_2) | instskip(SKIP_1) | instid1(VALU_DEP_2)
	v_fma_f64 v[77:78], v[203:204], s[50:51], v[75:76]
	v_fma_f64 v[4:5], v[203:204], s[50:51], -v[75:76]
	v_add_f64 v[8:9], v[77:78], v[8:9]
	v_mul_f64 v[77:78], v[213:214], s[50:51]
	s_delay_alu instid0(VALU_DEP_3) | instskip(NEXT) | instid1(VALU_DEP_2)
	v_add_f64 v[4:5], v[4:5], v[6:7]
	v_fma_f64 v[73:74], v[209:210], s[48:49], v[77:78]
	v_fma_f64 v[219:220], v[209:210], s[54:55], v[77:78]
	s_delay_alu instid0(VALU_DEP_2) | instskip(SKIP_1) | instid1(VALU_DEP_3)
	v_add_f64 v[6:7], v[73:74], v[71:72]
	v_mul_f64 v[71:72], v[135:136], s[24:25]
	v_add_f64 v[10:11], v[219:220], v[10:11]
	v_mul_f64 v[219:220], v[213:214], s[20:21]
	s_delay_alu instid0(VALU_DEP_3) | instskip(SKIP_1) | instid1(VALU_DEP_2)
	v_fma_f64 v[73:74], v[123:124], s[2:3], v[71:72]
	v_fma_f64 v[71:72], v[123:124], s[2:3], -v[71:72]
	v_add_f64 v[18:19], v[73:74], v[18:19]
	v_mul_f64 v[73:74], v[137:138], s[2:3]
	s_delay_alu instid0(VALU_DEP_3) | instskip(NEXT) | instid1(VALU_DEP_2)
	v_add_f64 v[14:15], v[71:72], v[14:15]
	v_fma_f64 v[75:76], v[125:126], s[28:29], v[73:74]
	v_fma_f64 v[71:72], v[125:126], s[24:25], v[73:74]
	;; [unrolled: 1-line block ×3, first 2 shown]
	s_delay_alu instid0(VALU_DEP_3) | instskip(SKIP_1) | instid1(VALU_DEP_4)
	v_add_f64 v[16:17], v[75:76], v[16:17]
	v_mul_f64 v[75:76], v[155:156], s[16:17]
	v_add_f64 v[12:13], v[71:72], v[12:13]
	s_delay_alu instid0(VALU_DEP_2) | instskip(SKIP_1) | instid1(VALU_DEP_2)
	v_fma_f64 v[77:78], v[143:144], s[18:19], v[75:76]
	v_fma_f64 v[71:72], v[143:144], s[18:19], -v[75:76]
	v_add_f64 v[18:19], v[77:78], v[18:19]
	v_mul_f64 v[77:78], v[157:158], s[18:19]
	s_delay_alu instid0(VALU_DEP_3) | instskip(NEXT) | instid1(VALU_DEP_2)
	v_add_f64 v[14:15], v[71:72], v[14:15]
	v_fma_f64 v[167:168], v[149:150], s[46:47], v[77:78]
	v_fma_f64 v[71:72], v[149:150], s[16:17], v[77:78]
	s_delay_alu instid0(VALU_DEP_2) | instskip(SKIP_1) | instid1(VALU_DEP_3)
	v_add_f64 v[16:17], v[167:168], v[16:17]
	v_mul_f64 v[167:168], v[163:164], s[48:49]
	v_add_f64 v[12:13], v[71:72], v[12:13]
	s_delay_alu instid0(VALU_DEP_2) | instskip(SKIP_1) | instid1(VALU_DEP_2)
	v_fma_f64 v[169:170], v[159:160], s[50:51], v[167:168]
	v_fma_f64 v[71:72], v[159:160], s[50:51], -v[167:168]
	v_add_f64 v[18:19], v[169:170], v[18:19]
	v_mul_f64 v[169:170], v[165:166], s[50:51]
	s_delay_alu instid0(VALU_DEP_3) | instskip(NEXT) | instid1(VALU_DEP_2)
	v_add_f64 v[14:15], v[71:72], v[14:15]
	v_fma_f64 v[183:184], v[161:162], s[54:55], v[169:170]
	v_fma_f64 v[71:72], v[161:162], s[48:49], v[169:170]
	s_delay_alu instid0(VALU_DEP_2) | instskip(SKIP_1) | instid1(VALU_DEP_3)
	;; [unrolled: 13-line block ×5, first 2 shown]
	v_add_f64 v[71:72], v[71:72], v[12:13]
	v_fma_f64 v[12:13], v[203:204], s[20:21], -v[217:218]
	v_add_f64 v[215:216], v[215:216], v[16:17]
	v_fma_f64 v[16:17], v[203:204], s[20:21], v[217:218]
	v_mul_f64 v[217:218], v[211:212], s[22:23]
	s_delay_alu instid0(VALU_DEP_4)
	v_add_f64 v[12:13], v[12:13], v[14:15]
	v_add_f64 v[14:15], v[73:74], v[71:72]
	v_mul_f64 v[71:72], v[135:136], s[16:17]
	v_add_f64 v[16:17], v[16:17], v[18:19]
	v_fma_f64 v[18:19], v[209:210], s[42:43], v[219:220]
	v_mul_f64 v[219:220], v[213:214], s[26:27]
	s_delay_alu instid0(VALU_DEP_4) | instskip(SKIP_1) | instid1(VALU_DEP_4)
	v_fma_f64 v[73:74], v[123:124], s[18:19], v[71:72]
	v_fma_f64 v[71:72], v[123:124], s[18:19], -v[71:72]
	v_add_f64 v[18:19], v[18:19], v[215:216]
	s_delay_alu instid0(VALU_DEP_3) | instskip(SKIP_1) | instid1(VALU_DEP_4)
	v_add_f64 v[26:27], v[73:74], v[26:27]
	v_mul_f64 v[73:74], v[137:138], s[18:19]
	v_add_f64 v[22:23], v[71:72], v[22:23]
	s_delay_alu instid0(VALU_DEP_2) | instskip(SKIP_2) | instid1(VALU_DEP_3)
	v_fma_f64 v[75:76], v[125:126], s[46:47], v[73:74]
	v_fma_f64 v[71:72], v[125:126], s[16:17], v[73:74]
	;; [unrolled: 1-line block ×3, first 2 shown]
	v_add_f64 v[24:25], v[75:76], v[24:25]
	v_mul_f64 v[75:76], v[155:156], s[54:55]
	s_delay_alu instid0(VALU_DEP_4) | instskip(NEXT) | instid1(VALU_DEP_2)
	v_add_f64 v[20:21], v[71:72], v[20:21]
	v_fma_f64 v[77:78], v[143:144], s[50:51], v[75:76]
	v_fma_f64 v[71:72], v[143:144], s[50:51], -v[75:76]
	s_delay_alu instid0(VALU_DEP_2) | instskip(SKIP_1) | instid1(VALU_DEP_3)
	v_add_f64 v[26:27], v[77:78], v[26:27]
	v_mul_f64 v[77:78], v[157:158], s[50:51]
	v_add_f64 v[22:23], v[71:72], v[22:23]
	s_delay_alu instid0(VALU_DEP_2) | instskip(SKIP_1) | instid1(VALU_DEP_2)
	v_fma_f64 v[167:168], v[149:150], s[48:49], v[77:78]
	v_fma_f64 v[71:72], v[149:150], s[54:55], v[77:78]
	v_add_f64 v[24:25], v[167:168], v[24:25]
	v_mul_f64 v[167:168], v[163:164], s[44:45]
	s_delay_alu instid0(VALU_DEP_3) | instskip(NEXT) | instid1(VALU_DEP_2)
	v_add_f64 v[20:21], v[71:72], v[20:21]
	v_fma_f64 v[169:170], v[159:160], s[12:13], v[167:168]
	v_fma_f64 v[71:72], v[159:160], s[12:13], -v[167:168]
	s_delay_alu instid0(VALU_DEP_2) | instskip(SKIP_1) | instid1(VALU_DEP_3)
	v_add_f64 v[26:27], v[169:170], v[26:27]
	v_mul_f64 v[169:170], v[165:166], s[12:13]
	v_add_f64 v[22:23], v[71:72], v[22:23]
	s_delay_alu instid0(VALU_DEP_2) | instskip(SKIP_1) | instid1(VALU_DEP_2)
	v_fma_f64 v[183:184], v[161:162], s[6:7], v[169:170]
	v_fma_f64 v[71:72], v[161:162], s[44:45], v[169:170]
	v_add_f64 v[24:25], v[183:184], v[24:25]
	v_mul_f64 v[183:184], v[175:176], s[34:35]
	s_delay_alu instid0(VALU_DEP_3) | instskip(NEXT) | instid1(VALU_DEP_2)
	;; [unrolled: 13-line block ×4, first 2 shown]
	v_add_f64 v[20:21], v[71:72], v[20:21]
	v_fma_f64 v[207:208], v[191:192], s[2:3], v[205:206]
	v_fma_f64 v[71:72], v[191:192], s[2:3], -v[205:206]
	s_delay_alu instid0(VALU_DEP_2) | instskip(SKIP_1) | instid1(VALU_DEP_3)
	v_add_f64 v[26:27], v[207:208], v[26:27]
	v_mul_f64 v[207:208], v[201:202], s[2:3]
	v_add_f64 v[22:23], v[71:72], v[22:23]
	s_delay_alu instid0(VALU_DEP_2) | instskip(SKIP_1) | instid1(VALU_DEP_2)
	v_fma_f64 v[71:72], v[193:194], s[24:25], v[207:208]
	v_fma_f64 v[215:216], v[193:194], s[28:29], v[207:208]
	v_add_f64 v[71:72], v[71:72], v[20:21]
	v_fma_f64 v[20:21], v[203:204], s[26:27], -v[217:218]
	s_delay_alu instid0(VALU_DEP_3) | instskip(SKIP_2) | instid1(VALU_DEP_4)
	v_add_f64 v[215:216], v[215:216], v[24:25]
	v_fma_f64 v[24:25], v[203:204], s[26:27], v[217:218]
	v_mul_f64 v[217:218], v[211:212], s[34:35]
	v_add_f64 v[20:21], v[20:21], v[22:23]
	v_add_f64 v[22:23], v[73:74], v[71:72]
	v_mul_f64 v[71:72], v[135:136], s[48:49]
	v_add_f64 v[24:25], v[24:25], v[26:27]
	v_fma_f64 v[26:27], v[209:210], s[52:53], v[219:220]
	v_mul_f64 v[219:220], v[213:214], s[14:15]
	s_delay_alu instid0(VALU_DEP_4) | instskip(SKIP_1) | instid1(VALU_DEP_4)
	v_fma_f64 v[73:74], v[123:124], s[50:51], v[71:72]
	v_fma_f64 v[71:72], v[123:124], s[50:51], -v[71:72]
	v_add_f64 v[26:27], v[26:27], v[215:216]
	s_delay_alu instid0(VALU_DEP_3) | instskip(SKIP_1) | instid1(VALU_DEP_4)
	v_add_f64 v[34:35], v[73:74], v[34:35]
	v_mul_f64 v[73:74], v[137:138], s[50:51]
	v_add_f64 v[30:31], v[71:72], v[30:31]
	s_delay_alu instid0(VALU_DEP_2) | instskip(SKIP_2) | instid1(VALU_DEP_3)
	v_fma_f64 v[75:76], v[125:126], s[54:55], v[73:74]
	v_fma_f64 v[71:72], v[125:126], s[48:49], v[73:74]
	;; [unrolled: 1-line block ×3, first 2 shown]
	v_add_f64 v[32:33], v[75:76], v[32:33]
	v_mul_f64 v[75:76], v[155:156], s[44:45]
	s_delay_alu instid0(VALU_DEP_4) | instskip(NEXT) | instid1(VALU_DEP_2)
	v_add_f64 v[28:29], v[71:72], v[28:29]
	v_fma_f64 v[77:78], v[143:144], s[12:13], v[75:76]
	v_fma_f64 v[71:72], v[143:144], s[12:13], -v[75:76]
	s_delay_alu instid0(VALU_DEP_2) | instskip(SKIP_1) | instid1(VALU_DEP_3)
	v_add_f64 v[34:35], v[77:78], v[34:35]
	v_mul_f64 v[77:78], v[157:158], s[12:13]
	v_add_f64 v[30:31], v[71:72], v[30:31]
	s_delay_alu instid0(VALU_DEP_2) | instskip(SKIP_1) | instid1(VALU_DEP_2)
	v_fma_f64 v[167:168], v[149:150], s[6:7], v[77:78]
	v_fma_f64 v[71:72], v[149:150], s[44:45], v[77:78]
	v_add_f64 v[32:33], v[167:168], v[32:33]
	v_mul_f64 v[167:168], v[163:164], s[36:37]
	s_delay_alu instid0(VALU_DEP_3) | instskip(NEXT) | instid1(VALU_DEP_2)
	v_add_f64 v[28:29], v[71:72], v[28:29]
	v_fma_f64 v[169:170], v[159:160], s[20:21], v[167:168]
	v_fma_f64 v[71:72], v[159:160], s[20:21], -v[167:168]
	s_delay_alu instid0(VALU_DEP_2) | instskip(SKIP_1) | instid1(VALU_DEP_3)
	v_add_f64 v[34:35], v[169:170], v[34:35]
	v_mul_f64 v[169:170], v[165:166], s[20:21]
	v_add_f64 v[30:31], v[71:72], v[30:31]
	s_delay_alu instid0(VALU_DEP_2) | instskip(SKIP_1) | instid1(VALU_DEP_2)
	v_fma_f64 v[183:184], v[161:162], s[42:43], v[169:170]
	v_fma_f64 v[71:72], v[161:162], s[36:37], v[169:170]
	v_add_f64 v[32:33], v[183:184], v[32:33]
	v_mul_f64 v[183:184], v[175:176], s[38:39]
	s_delay_alu instid0(VALU_DEP_3) | instskip(NEXT) | instid1(VALU_DEP_2)
	;; [unrolled: 13-line block ×4, first 2 shown]
	v_add_f64 v[28:29], v[71:72], v[28:29]
	v_fma_f64 v[207:208], v[191:192], s[18:19], v[205:206]
	v_fma_f64 v[71:72], v[191:192], s[18:19], -v[205:206]
	s_delay_alu instid0(VALU_DEP_2) | instskip(SKIP_1) | instid1(VALU_DEP_3)
	v_add_f64 v[34:35], v[207:208], v[34:35]
	v_mul_f64 v[207:208], v[201:202], s[18:19]
	v_add_f64 v[30:31], v[71:72], v[30:31]
	s_delay_alu instid0(VALU_DEP_2) | instskip(SKIP_1) | instid1(VALU_DEP_2)
	v_fma_f64 v[71:72], v[193:194], s[46:47], v[207:208]
	v_fma_f64 v[215:216], v[193:194], s[16:17], v[207:208]
	v_add_f64 v[71:72], v[71:72], v[28:29]
	v_fma_f64 v[28:29], v[203:204], s[14:15], -v[217:218]
	s_delay_alu instid0(VALU_DEP_3) | instskip(SKIP_2) | instid1(VALU_DEP_4)
	v_add_f64 v[215:216], v[215:216], v[32:33]
	v_fma_f64 v[32:33], v[203:204], s[14:15], v[217:218]
	v_mul_f64 v[217:218], v[211:212], s[16:17]
	v_add_f64 v[28:29], v[28:29], v[30:31]
	v_add_f64 v[30:31], v[73:74], v[71:72]
	v_mul_f64 v[71:72], v[135:136], s[52:53]
	v_add_f64 v[32:33], v[32:33], v[34:35]
	v_fma_f64 v[34:35], v[209:210], s[40:41], v[219:220]
	v_mul_f64 v[219:220], v[213:214], s[18:19]
	s_delay_alu instid0(VALU_DEP_4) | instskip(SKIP_1) | instid1(VALU_DEP_4)
	v_fma_f64 v[73:74], v[123:124], s[26:27], v[71:72]
	v_fma_f64 v[71:72], v[123:124], s[26:27], -v[71:72]
	v_add_f64 v[34:35], v[34:35], v[215:216]
	s_delay_alu instid0(VALU_DEP_3) | instskip(SKIP_1) | instid1(VALU_DEP_4)
	v_add_f64 v[38:39], v[73:74], v[38:39]
	v_mul_f64 v[73:74], v[137:138], s[26:27]
	v_add_f64 v[42:43], v[71:72], v[42:43]
	s_delay_alu instid0(VALU_DEP_2) | instskip(SKIP_2) | instid1(VALU_DEP_3)
	v_fma_f64 v[75:76], v[125:126], s[22:23], v[73:74]
	v_fma_f64 v[71:72], v[125:126], s[52:53], v[73:74]
	v_fma_f64 v[73:74], v[209:210], s[16:17], v[219:220]
	v_add_f64 v[36:37], v[75:76], v[36:37]
	v_mul_f64 v[75:76], v[155:156], s[34:35]
	s_delay_alu instid0(VALU_DEP_4) | instskip(NEXT) | instid1(VALU_DEP_2)
	v_add_f64 v[40:41], v[71:72], v[40:41]
	v_fma_f64 v[77:78], v[143:144], s[14:15], v[75:76]
	v_fma_f64 v[71:72], v[143:144], s[14:15], -v[75:76]
	v_mul_f64 v[75:76], v[137:138], s[12:13]
	s_delay_alu instid0(VALU_DEP_3) | instskip(SKIP_1) | instid1(VALU_DEP_4)
	v_add_f64 v[38:39], v[77:78], v[38:39]
	v_mul_f64 v[77:78], v[157:158], s[14:15]
	v_add_f64 v[42:43], v[71:72], v[42:43]
	s_delay_alu instid0(VALU_DEP_2) | instskip(SKIP_3) | instid1(VALU_DEP_4)
	v_fma_f64 v[167:168], v[149:150], s[40:41], v[77:78]
	v_fma_f64 v[71:72], v[149:150], s[34:35], v[77:78]
	;; [unrolled: 1-line block ×4, first 2 shown]
	v_add_f64 v[36:37], v[167:168], v[36:37]
	v_mul_f64 v[167:168], v[163:164], s[38:39]
	v_add_f64 v[40:41], v[71:72], v[40:41]
	v_add_f64 v[77:78], v[77:78], v[151:152]
	;; [unrolled: 1-line block ×3, first 2 shown]
	s_delay_alu instid0(VALU_DEP_4) | instskip(SKIP_2) | instid1(VALU_DEP_3)
	v_fma_f64 v[169:170], v[159:160], s[10:11], v[167:168]
	v_fma_f64 v[71:72], v[159:160], s[10:11], -v[167:168]
	v_mul_f64 v[167:168], v[155:156], s[42:43]
	v_add_f64 v[38:39], v[169:170], v[38:39]
	v_mul_f64 v[169:170], v[165:166], s[10:11]
	s_delay_alu instid0(VALU_DEP_4) | instskip(NEXT) | instid1(VALU_DEP_4)
	v_add_f64 v[42:43], v[71:72], v[42:43]
	v_fma_f64 v[151:152], v[143:144], s[20:21], v[167:168]
	s_delay_alu instid0(VALU_DEP_3) | instskip(SKIP_2) | instid1(VALU_DEP_3)
	v_fma_f64 v[183:184], v[161:162], s[30:31], v[169:170]
	v_fma_f64 v[71:72], v[161:162], s[38:39], v[169:170]
	v_mul_f64 v[169:170], v[157:158], s[20:21]
	v_add_f64 v[36:37], v[183:184], v[36:37]
	v_mul_f64 v[183:184], v[175:176], s[48:49]
	s_delay_alu instid0(VALU_DEP_4) | instskip(NEXT) | instid1(VALU_DEP_2)
	v_add_f64 v[40:41], v[71:72], v[40:41]
	v_fma_f64 v[185:186], v[171:172], s[50:51], v[183:184]
	v_fma_f64 v[71:72], v[171:172], s[50:51], -v[183:184]
	v_mul_f64 v[183:184], v[163:164], s[22:23]
	s_delay_alu instid0(VALU_DEP_3) | instskip(SKIP_1) | instid1(VALU_DEP_4)
	v_add_f64 v[38:39], v[185:186], v[38:39]
	v_mul_f64 v[185:186], v[177:178], s[50:51]
	v_add_f64 v[42:43], v[71:72], v[42:43]
	s_delay_alu instid0(VALU_DEP_2) | instskip(SKIP_2) | instid1(VALU_DEP_3)
	v_fma_f64 v[195:196], v[173:174], s[54:55], v[185:186]
	v_fma_f64 v[71:72], v[173:174], s[48:49], v[185:186]
	v_mul_f64 v[185:186], v[165:166], s[26:27]
	v_add_f64 v[36:37], v[195:196], v[36:37]
	v_mul_f64 v[195:196], v[187:188], s[28:29]
	s_delay_alu instid0(VALU_DEP_4) | instskip(NEXT) | instid1(VALU_DEP_2)
	v_add_f64 v[40:41], v[71:72], v[40:41]
	v_fma_f64 v[197:198], v[179:180], s[2:3], v[195:196]
	v_fma_f64 v[71:72], v[179:180], s[2:3], -v[195:196]
	v_mul_f64 v[195:196], v[175:176], s[28:29]
	s_delay_alu instid0(VALU_DEP_3) | instskip(SKIP_1) | instid1(VALU_DEP_4)
	v_add_f64 v[38:39], v[197:198], v[38:39]
	v_mul_f64 v[197:198], v[189:190], s[2:3]
	v_add_f64 v[42:43], v[71:72], v[42:43]
	s_delay_alu instid0(VALU_DEP_2) | instskip(SKIP_2) | instid1(VALU_DEP_3)
	;; [unrolled: 15-line block ×3, first 2 shown]
	v_fma_f64 v[71:72], v[193:194], s[42:43], v[207:208]
	v_fma_f64 v[215:216], v[193:194], s[36:37], v[207:208]
	v_mul_f64 v[207:208], v[189:190], s[14:15]
	v_add_f64 v[71:72], v[71:72], v[40:41]
	v_fma_f64 v[40:41], v[203:204], s[18:19], -v[217:218]
	s_delay_alu instid0(VALU_DEP_4) | instskip(SKIP_2) | instid1(VALU_DEP_4)
	v_add_f64 v[215:216], v[215:216], v[36:37]
	v_fma_f64 v[36:37], v[203:204], s[18:19], v[217:218]
	v_mul_f64 v[217:218], v[201:202], s[50:51]
	v_add_f64 v[40:41], v[40:41], v[42:43]
	v_add_f64 v[42:43], v[73:74], v[71:72]
	v_mul_f64 v[71:72], v[135:136], s[44:45]
	v_add_f64 v[36:37], v[36:37], v[38:39]
	v_fma_f64 v[38:39], v[209:210], s[46:47], v[219:220]
	v_mul_f64 v[219:220], v[211:212], s[30:31]
	s_delay_alu instid0(VALU_DEP_4) | instskip(SKIP_1) | instid1(VALU_DEP_4)
	v_fma_f64 v[73:74], v[123:124], s[12:13], v[71:72]
	v_fma_f64 v[71:72], v[123:124], s[12:13], -v[71:72]
	v_add_f64 v[38:39], v[38:39], v[215:216]
	v_mul_f64 v[215:216], v[199:200], s[48:49]
	s_delay_alu instid0(VALU_DEP_4) | instskip(NEXT) | instid1(VALU_DEP_4)
	v_add_f64 v[73:74], v[73:74], v[153:154]
	v_add_f64 v[71:72], v[71:72], v[147:148]
	s_delay_alu instid0(VALU_DEP_2) | instskip(SKIP_1) | instid1(VALU_DEP_1)
	v_add_f64 v[73:74], v[151:152], v[73:74]
	v_fma_f64 v[151:152], v[149:150], s[36:37], v[169:170]
	v_add_f64 v[77:78], v[151:152], v[77:78]
	v_fma_f64 v[151:152], v[159:160], s[26:27], v[183:184]
	s_delay_alu instid0(VALU_DEP_1) | instskip(SKIP_1) | instid1(VALU_DEP_1)
	v_add_f64 v[73:74], v[151:152], v[73:74]
	v_fma_f64 v[151:152], v[161:162], s[52:53], v[185:186]
	v_add_f64 v[77:78], v[151:152], v[77:78]
	v_fma_f64 v[151:152], v[171:172], s[2:3], v[195:196]
	s_delay_alu instid0(VALU_DEP_1) | instskip(SKIP_1) | instid1(VALU_DEP_1)
	;; [unrolled: 5-line block ×5, first 2 shown]
	v_add_f64 v[151:152], v[151:152], v[73:74]
	v_mul_f64 v[73:74], v[213:214], s[10:11]
	v_fma_f64 v[153:154], v[209:210], s[38:39], v[73:74]
	v_fma_f64 v[73:74], v[209:210], s[30:31], v[73:74]
	s_delay_alu instid0(VALU_DEP_2) | instskip(SKIP_2) | instid1(VALU_DEP_2)
	v_add_f64 v[153:154], v[153:154], v[77:78]
	v_fma_f64 v[77:78], v[143:144], s[20:21], -v[167:168]
	v_mul_f64 v[167:168], v[155:156], s[24:25]
	v_add_f64 v[71:72], v[77:78], v[71:72]
	v_fma_f64 v[77:78], v[149:150], s[42:43], v[169:170]
	v_mul_f64 v[169:170], v[157:158], s[2:3]
	s_delay_alu instid0(VALU_DEP_2) | instskip(SKIP_2) | instid1(VALU_DEP_2)
	v_add_f64 v[75:76], v[77:78], v[75:76]
	v_fma_f64 v[77:78], v[159:160], s[26:27], -v[183:184]
	v_mul_f64 v[183:184], v[163:164], s[46:47]
	v_add_f64 v[71:72], v[77:78], v[71:72]
	v_fma_f64 v[77:78], v[161:162], s[22:23], v[185:186]
	v_mul_f64 v[185:186], v[165:166], s[18:19]
	;; [unrolled: 7-line block ×5, first 2 shown]
	s_delay_alu instid0(VALU_DEP_2) | instskip(SKIP_2) | instid1(VALU_DEP_3)
	v_add_f64 v[75:76], v[77:78], v[75:76]
	v_fma_f64 v[77:78], v[203:204], s[10:11], -v[219:220]
	v_mul_f64 v[219:220], v[211:212], s[6:7]
	v_add_f64 v[147:148], v[73:74], v[75:76]
	s_delay_alu instid0(VALU_DEP_3) | instskip(SKIP_2) | instid1(VALU_DEP_2)
	v_add_f64 v[145:146], v[77:78], v[71:72]
	v_mul_f64 v[71:72], v[135:136], s[30:31]
	v_mul_f64 v[75:76], v[137:138], s[10:11]
	v_fma_f64 v[73:74], v[123:124], s[10:11], v[71:72]
	s_delay_alu instid0(VALU_DEP_2) | instskip(SKIP_2) | instid1(VALU_DEP_4)
	v_fma_f64 v[77:78], v[125:126], s[38:39], v[75:76]
	v_fma_f64 v[71:72], v[123:124], s[10:11], -v[71:72]
	v_fma_f64 v[75:76], v[125:126], s[30:31], v[75:76]
	v_add_f64 v[73:74], v[73:74], v[141:142]
	s_delay_alu instid0(VALU_DEP_4) | instskip(SKIP_3) | instid1(VALU_DEP_3)
	v_add_f64 v[77:78], v[77:78], v[139:140]
	v_fma_f64 v[139:140], v[143:144], s[2:3], v[167:168]
	v_add_f64 v[71:72], v[71:72], v[133:134]
	v_add_f64 v[75:76], v[75:76], v[131:132]
	v_add_f64 v[73:74], v[139:140], v[73:74]
	v_fma_f64 v[139:140], v[149:150], s[28:29], v[169:170]
	s_delay_alu instid0(VALU_DEP_1) | instskip(SKIP_1) | instid1(VALU_DEP_1)
	v_add_f64 v[77:78], v[139:140], v[77:78]
	v_fma_f64 v[139:140], v[159:160], s[18:19], v[183:184]
	v_add_f64 v[73:74], v[139:140], v[73:74]
	v_fma_f64 v[139:140], v[161:162], s[16:17], v[185:186]
	s_delay_alu instid0(VALU_DEP_1) | instskip(SKIP_1) | instid1(VALU_DEP_1)
	v_add_f64 v[77:78], v[139:140], v[77:78]
	v_fma_f64 v[139:140], v[171:172], s[20:21], v[195:196]
	v_add_f64 v[73:74], v[139:140], v[73:74]
	v_fma_f64 v[139:140], v[173:174], s[36:37], v[197:198]
	s_delay_alu instid0(VALU_DEP_1) | instskip(SKIP_1) | instid1(VALU_DEP_1)
	v_add_f64 v[77:78], v[139:140], v[77:78]
	v_fma_f64 v[139:140], v[179:180], s[50:51], v[205:206]
	v_add_f64 v[73:74], v[139:140], v[73:74]
	v_fma_f64 v[139:140], v[181:182], s[54:55], v[207:208]
	s_delay_alu instid0(VALU_DEP_1) | instskip(SKIP_1) | instid1(VALU_DEP_1)
	v_add_f64 v[77:78], v[139:140], v[77:78]
	v_fma_f64 v[139:140], v[191:192], s[14:15], v[215:216]
	v_add_f64 v[73:74], v[139:140], v[73:74]
	v_fma_f64 v[139:140], v[193:194], s[40:41], v[217:218]
	s_delay_alu instid0(VALU_DEP_1) | instskip(SKIP_1) | instid1(VALU_DEP_1)
	v_add_f64 v[77:78], v[139:140], v[77:78]
	v_fma_f64 v[139:140], v[203:204], s[12:13], v[219:220]
	v_add_f64 v[139:140], v[139:140], v[73:74]
	v_mul_f64 v[73:74], v[213:214], s[12:13]
	s_delay_alu instid0(VALU_DEP_1) | instskip(SKIP_1) | instid1(VALU_DEP_2)
	v_fma_f64 v[141:142], v[209:210], s[44:45], v[73:74]
	v_fma_f64 v[73:74], v[209:210], s[6:7], v[73:74]
	v_add_f64 v[141:142], v[141:142], v[77:78]
	v_fma_f64 v[77:78], v[143:144], s[2:3], -v[167:168]
	v_mul_f64 v[167:168], v[187:188], s[30:31]
	s_delay_alu instid0(VALU_DEP_2) | instskip(SKIP_2) | instid1(VALU_DEP_2)
	v_add_f64 v[71:72], v[77:78], v[71:72]
	v_fma_f64 v[77:78], v[149:150], s[24:25], v[169:170]
	v_mul_f64 v[169:170], v[189:190], s[10:11]
	v_add_f64 v[75:76], v[77:78], v[75:76]
	v_fma_f64 v[77:78], v[159:160], s[18:19], -v[183:184]
	v_mul_f64 v[183:184], v[211:212], s[28:29]
	s_delay_alu instid0(VALU_DEP_2) | instskip(SKIP_2) | instid1(VALU_DEP_2)
	v_add_f64 v[71:72], v[77:78], v[71:72]
	v_fma_f64 v[77:78], v[161:162], s[46:47], v[185:186]
	v_mul_f64 v[185:186], v[213:214], s[2:3]
	v_add_f64 v[75:76], v[77:78], v[75:76]
	v_fma_f64 v[77:78], v[171:172], s[20:21], -v[195:196]
	s_delay_alu instid0(VALU_DEP_1) | instskip(SKIP_1) | instid1(VALU_DEP_1)
	v_add_f64 v[71:72], v[77:78], v[71:72]
	v_fma_f64 v[77:78], v[173:174], s[42:43], v[197:198]
	v_add_f64 v[75:76], v[77:78], v[75:76]
	v_fma_f64 v[77:78], v[179:180], s[50:51], -v[205:206]
	s_delay_alu instid0(VALU_DEP_1) | instskip(SKIP_1) | instid1(VALU_DEP_1)
	v_add_f64 v[71:72], v[77:78], v[71:72]
	v_fma_f64 v[77:78], v[181:182], s[48:49], v[207:208]
	;; [unrolled: 5-line block ×3, first 2 shown]
	v_add_f64 v[75:76], v[77:78], v[75:76]
	v_fma_f64 v[77:78], v[203:204], s[12:13], -v[219:220]
	s_delay_alu instid0(VALU_DEP_2) | instskip(NEXT) | instid1(VALU_DEP_2)
	v_add_f64 v[133:134], v[73:74], v[75:76]
	v_add_f64 v[131:132], v[77:78], v[71:72]
	v_mul_f64 v[71:72], v[135:136], s[36:37]
	v_mul_f64 v[75:76], v[137:138], s[20:21]
	;; [unrolled: 1-line block ×10, first 2 shown]
	v_fma_f64 v[73:74], v[123:124], s[20:21], v[71:72]
	v_fma_f64 v[77:78], v[125:126], s[42:43], v[75:76]
	v_fma_f64 v[71:72], v[123:124], s[20:21], -v[71:72]
	s_delay_alu instid0(VALU_DEP_3) | instskip(NEXT) | instid1(VALU_DEP_3)
	v_add_f64 v[73:74], v[73:74], v[129:130]
	v_add_f64 v[77:78], v[77:78], v[127:128]
	v_fma_f64 v[127:128], v[143:144], s[26:27], v[135:136]
	s_delay_alu instid0(VALU_DEP_4) | instskip(NEXT) | instid1(VALU_DEP_2)
	v_add_f64 v[71:72], v[71:72], v[119:120]
	v_add_f64 v[73:74], v[127:128], v[73:74]
	v_fma_f64 v[127:128], v[149:150], s[52:53], v[137:138]
	s_delay_alu instid0(VALU_DEP_1) | instskip(SKIP_1) | instid1(VALU_DEP_1)
	v_add_f64 v[77:78], v[127:128], v[77:78]
	v_fma_f64 v[127:128], v[159:160], s[14:15], v[155:156]
	v_add_f64 v[73:74], v[127:128], v[73:74]
	v_fma_f64 v[127:128], v[161:162], s[40:41], v[157:158]
	s_delay_alu instid0(VALU_DEP_1) | instskip(SKIP_1) | instid1(VALU_DEP_1)
	v_add_f64 v[77:78], v[127:128], v[77:78]
	v_fma_f64 v[127:128], v[171:172], s[18:19], v[163:164]
	;; [unrolled: 5-line block ×5, first 2 shown]
	v_add_f64 v[127:128], v[127:128], v[73:74]
	v_fma_f64 v[73:74], v[209:210], s[24:25], v[185:186]
	s_delay_alu instid0(VALU_DEP_1) | instskip(SKIP_3) | instid1(VALU_DEP_3)
	v_add_f64 v[129:130], v[73:74], v[77:78]
	v_fma_f64 v[73:74], v[125:126], s[36:37], v[75:76]
	v_fma_f64 v[75:76], v[143:144], s[26:27], -v[135:136]
	v_fma_f64 v[77:78], v[149:150], s[22:23], v[137:138]
	v_add_f64 v[73:74], v[73:74], v[121:122]
	s_delay_alu instid0(VALU_DEP_3) | instskip(SKIP_1) | instid1(VALU_DEP_3)
	v_add_f64 v[71:72], v[75:76], v[71:72]
	v_fma_f64 v[75:76], v[159:160], s[14:15], -v[155:156]
	v_add_f64 v[73:74], v[77:78], v[73:74]
	v_fma_f64 v[77:78], v[161:162], s[34:35], v[157:158]
	s_delay_alu instid0(VALU_DEP_3) | instskip(SKIP_1) | instid1(VALU_DEP_3)
	v_add_f64 v[71:72], v[75:76], v[71:72]
	v_fma_f64 v[75:76], v[171:172], s[18:19], -v[163:164]
	v_add_f64 v[73:74], v[77:78], v[73:74]
	v_fma_f64 v[77:78], v[173:174], s[16:17], v[165:166]
	;; [unrolled: 5-line block ×5, first 2 shown]
	s_delay_alu instid0(VALU_DEP_3) | instskip(NEXT) | instid1(VALU_DEP_2)
	v_add_f64 v[119:120], v[75:76], v[71:72]
	v_add_f64 v[121:122], v[77:78], v[73:74]
	ds_store_b128 v44, v[16:19] offset:1088
	ds_store_b128 v44, v[24:27] offset:1632
	;; [unrolled: 1-line block ×16, first 2 shown]
	ds_store_b128 v44, v[45:48]
	s_waitcnt lgkmcnt(0)
	s_barrier
	buffer_gl0_inv
	ds_load_b128 v[8:11], v222
	ds_load_b128 v[12:15], v229 offset:1088
	ds_load_b128 v[40:43], v229 offset:9248
	;; [unrolled: 1-line block ×15, first 2 shown]
	s_and_saveexec_b32 s1, s0
	s_cbranch_execz .LBB0_24
; %bb.23:
	ds_load_b128 v[4:7], v229 offset:8704
	ds_load_b128 v[0:3], v229 offset:17952
	v_mov_b32_e32 v80, v224
.LBB0_24:
	s_or_b32 exec_lo, exec_lo, s1
	s_clause 0x1
	scratch_load_b64 v[72:73], off, off offset:4
	scratch_load_b64 v[74:75], off, off offset:20
	s_waitcnt vmcnt(1)
	v_add_co_u32 v72, s1, s4, v72
	s_delay_alu instid0(VALU_DEP_1) | instskip(SKIP_2) | instid1(VALU_DEP_1)
	v_add_co_ci_u32_e64 v73, s1, s5, v73, s1
	s_waitcnt vmcnt(0)
	v_add_co_u32 v97, s1, s4, v74
	v_add_co_ci_u32_e64 v98, s1, s5, v75, s1
	v_add_co_u32 v72, s1, 0x2000, v72
	s_delay_alu instid0(VALU_DEP_1) | instskip(NEXT) | instid1(VALU_DEP_4)
	v_add_co_ci_u32_e64 v73, s1, 0, v73, s1
	v_add_co_u32 v74, s1, 0x2000, v97
	s_delay_alu instid0(VALU_DEP_1) | instskip(SKIP_1) | instid1(VALU_DEP_1)
	v_add_co_ci_u32_e64 v75, s1, 0, v98, s1
	v_add_co_u32 v101, s1, 0x3000, v97
	v_add_co_ci_u32_e64 v102, s1, 0, v98, s1
	s_clause 0x4
	global_load_b128 v[76:79], v[72:73], off offset:784
	global_load_b128 v[81:84], v[74:75], off offset:1872
	;; [unrolled: 1-line block ×5, first 2 shown]
	v_add_co_u32 v72, s1, 0x4000, v97
	s_delay_alu instid0(VALU_DEP_1)
	v_add_co_ci_u32_e64 v73, s1, 0, v98, s1
	s_clause 0x2
	global_load_b128 v[97:100], v[101:102], off offset:2128
	global_load_b128 v[101:104], v[101:102], off offset:3216
	;; [unrolled: 1-line block ×3, first 2 shown]
	s_waitcnt vmcnt(7) lgkmcnt(13)
	v_mul_f64 v[72:73], v[42:43], v[78:79]
	v_mul_f64 v[74:75], v[40:41], v[78:79]
	s_waitcnt vmcnt(6) lgkmcnt(12)
	v_mul_f64 v[78:79], v[46:47], v[83:84]
	v_mul_f64 v[83:84], v[44:45], v[83:84]
	;; [unrolled: 3-line block ×8, first 2 shown]
	v_fma_f64 v[40:41], v[40:41], v[76:77], v[72:73]
	scratch_load_b32 v72, off, off          ; 4-byte Folded Reload
	v_fma_f64 v[42:43], v[42:43], v[76:77], -v[74:75]
	v_fma_f64 v[44:45], v[44:45], v[81:82], v[78:79]
	v_fma_f64 v[46:47], v[46:47], v[81:82], -v[83:84]
	v_fma_f64 v[48:49], v[48:49], v[85:86], v[109:110]
	;; [unrolled: 2-line block ×7, first 2 shown]
	v_fma_f64 v[70:71], v[70:71], v[105:106], -v[107:108]
	v_lshl_add_u32 v73, v228, 4, 0
	s_waitcnt vmcnt(0)
	s_barrier
	buffer_gl0_inv
	v_add_f64 v[40:41], v[8:9], -v[40:41]
	v_add_f64 v[42:43], v[10:11], -v[42:43]
	;; [unrolled: 1-line block ×16, first 2 shown]
	v_fma_f64 v[8:9], v[8:9], 2.0, -v[40:41]
	v_fma_f64 v[10:11], v[10:11], 2.0, -v[42:43]
	;; [unrolled: 1-line block ×16, first 2 shown]
	v_lshl_add_u32 v72, v72, 4, v73
	ds_store_b128 v229, v[40:43] offset:9248
	ds_store_b128 v72, v[44:47] offset:10336
	;; [unrolled: 1-line block ×6, first 2 shown]
	ds_store_b128 v229, v[8:11]
	ds_store_b128 v229, v[12:15] offset:1088
	ds_store_b128 v229, v[16:19] offset:2176
	;; [unrolled: 1-line block ×9, first 2 shown]
	s_and_saveexec_b32 s1, s0
	s_cbranch_execz .LBB0_26
; %bb.25:
	v_mov_b32_e32 v81, 0
	s_delay_alu instid0(VALU_DEP_1) | instskip(NEXT) | instid1(VALU_DEP_1)
	v_lshlrev_b64 v[8:9], 4, v[80:81]
	v_add_co_u32 v8, s0, s4, v8
	s_delay_alu instid0(VALU_DEP_1) | instskip(NEXT) | instid1(VALU_DEP_2)
	v_add_co_ci_u32_e64 v9, s0, s5, v9, s0
	v_add_co_u32 v8, s0, 0x2000, v8
	s_delay_alu instid0(VALU_DEP_1) | instskip(SKIP_4) | instid1(VALU_DEP_2)
	v_add_co_ci_u32_e64 v9, s0, 0, v9, s0
	global_load_b128 v[8:11], v[8:9], off offset:784
	s_waitcnt vmcnt(0)
	v_mul_f64 v[12:13], v[0:1], v[10:11]
	v_mul_f64 v[10:11], v[2:3], v[10:11]
	v_fma_f64 v[2:3], v[2:3], v[8:9], -v[12:13]
	s_delay_alu instid0(VALU_DEP_2) | instskip(NEXT) | instid1(VALU_DEP_2)
	v_fma_f64 v[0:1], v[0:1], v[8:9], v[10:11]
	v_add_f64 v[2:3], v[6:7], -v[2:3]
	s_delay_alu instid0(VALU_DEP_2) | instskip(NEXT) | instid1(VALU_DEP_2)
	v_add_f64 v[0:1], v[4:5], -v[0:1]
	v_fma_f64 v[6:7], v[6:7], 2.0, -v[2:3]
	s_delay_alu instid0(VALU_DEP_2)
	v_fma_f64 v[4:5], v[4:5], 2.0, -v[0:1]
	ds_store_b128 v229, v[4:7] offset:8704
	ds_store_b128 v229, v[0:3] offset:17952
.LBB0_26:
	s_or_b32 exec_lo, exec_lo, s1
	s_waitcnt lgkmcnt(0)
	s_barrier
	buffer_gl0_inv
	s_and_saveexec_b32 s0, vcc_lo
	s_cbranch_execz .LBB0_28
; %bb.27:
	scratch_load_b32 v0, off, off offset:84 ; 4-byte Folded Reload
	v_dual_mov_b32 v229, 0 :: v_dual_add_nc_u32 v8, 0x44, v228
	v_add_nc_u32_e32 v10, 0x88, v228
	v_add_nc_u32_e32 v22, 0xcc, v228
	s_delay_alu instid0(VALU_DEP_3) | instskip(SKIP_3) | instid1(VALU_DEP_4)
	v_dual_mov_b32 v9, v229 :: v_dual_add_nc_u32 v24, 0x110, v228
	v_mov_b32_e32 v11, v229
	v_mov_b32_e32 v23, v229
	;; [unrolled: 1-line block ×3, first 2 shown]
	v_lshlrev_b64 v[18:19], 4, v[8:9]
	s_delay_alu instid0(VALU_DEP_4) | instskip(NEXT) | instid1(VALU_DEP_4)
	v_lshlrev_b64 v[20:21], 4, v[10:11]
	v_lshlrev_b64 v[22:23], 4, v[22:23]
	s_waitcnt vmcnt(0)
	v_lshl_add_u32 v28, v228, 4, v0
	scratch_load_b64 v[0:1], off, off offset:12 ; 8-byte Folded Reload
	s_waitcnt vmcnt(0)
	v_add_co_u32 v30, vcc_lo, s8, v0
	v_add_co_ci_u32_e32 v31, vcc_lo, s9, v1, vcc_lo
	v_lshlrev_b64 v[0:1], 4, v[228:229]
	s_delay_alu instid0(VALU_DEP_1) | instskip(NEXT) | instid1(VALU_DEP_2)
	v_add_co_u32 v16, vcc_lo, v30, v0
	v_add_co_ci_u32_e32 v17, vcc_lo, v31, v1, vcc_lo
	ds_load_b128 v[0:3], v28
	ds_load_b128 v[4:7], v28 offset:1088
	ds_load_b128 v[8:11], v28 offset:2176
	;; [unrolled: 1-line block ×3, first 2 shown]
	v_add_co_u32 v18, vcc_lo, v30, v18
	v_add_co_ci_u32_e32 v19, vcc_lo, v31, v19, vcc_lo
	v_add_co_u32 v20, vcc_lo, v30, v20
	v_add_co_ci_u32_e32 v21, vcc_lo, v31, v21, vcc_lo
	v_add_co_u32 v22, vcc_lo, v30, v22
	v_add_co_ci_u32_e32 v23, vcc_lo, v31, v23, vcc_lo
	s_waitcnt lgkmcnt(3)
	global_store_b128 v[16:17], v[0:3], off
	s_waitcnt lgkmcnt(2)
	global_store_b128 v[18:19], v[4:7], off
	;; [unrolled: 2-line block ×4, first 2 shown]
	v_add_nc_u32_e32 v8, 0x154, v228
	v_lshlrev_b64 v[0:1], 4, v[24:25]
	v_dual_mov_b32 v9, v229 :: v_dual_add_nc_u32 v10, 0x198, v228
	v_dual_mov_b32 v11, v229 :: v_dual_add_nc_u32 v22, 0x1dc, v228
	;; [unrolled: 1-line block ×3, first 2 shown]
	s_delay_alu instid0(VALU_DEP_4)
	v_add_co_u32 v16, vcc_lo, v30, v0
	v_add_co_ci_u32_e32 v17, vcc_lo, v31, v1, vcc_lo
	ds_load_b128 v[0:3], v28 offset:4352
	ds_load_b128 v[4:7], v28 offset:5440
	v_lshlrev_b64 v[18:19], 4, v[8:9]
	v_lshlrev_b64 v[20:21], 4, v[10:11]
	ds_load_b128 v[8:11], v28 offset:6528
	ds_load_b128 v[12:15], v28 offset:7616
	v_lshlrev_b64 v[22:23], 4, v[22:23]
	v_add_co_u32 v18, vcc_lo, v30, v18
	v_add_co_ci_u32_e32 v19, vcc_lo, v31, v19, vcc_lo
	v_add_co_u32 v20, vcc_lo, v30, v20
	v_add_co_ci_u32_e32 v21, vcc_lo, v31, v21, vcc_lo
	v_add_co_u32 v22, vcc_lo, v30, v22
	v_add_co_ci_u32_e32 v23, vcc_lo, v31, v23, vcc_lo
	s_waitcnt lgkmcnt(3)
	global_store_b128 v[16:17], v[0:3], off
	s_waitcnt lgkmcnt(2)
	global_store_b128 v[18:19], v[4:7], off
	;; [unrolled: 2-line block ×4, first 2 shown]
	v_lshlrev_b64 v[0:1], 4, v[24:25]
	v_dual_mov_b32 v9, v229 :: v_dual_add_nc_u32 v8, 0x264, v228
	v_dual_mov_b32 v11, v229 :: v_dual_add_nc_u32 v10, 0x2a8, v228
	;; [unrolled: 1-line block ×3, first 2 shown]
	s_delay_alu instid0(VALU_DEP_4)
	v_add_co_u32 v16, vcc_lo, v30, v0
	v_add_co_ci_u32_e32 v17, vcc_lo, v31, v1, vcc_lo
	ds_load_b128 v[0:3], v28 offset:8704
	ds_load_b128 v[4:7], v28 offset:9792
	v_lshlrev_b64 v[18:19], 4, v[8:9]
	v_lshlrev_b64 v[20:21], 4, v[10:11]
	ds_load_b128 v[8:11], v28 offset:10880
	ds_load_b128 v[12:15], v28 offset:11968
	v_lshlrev_b64 v[22:23], 4, v[22:23]
	v_add_nc_u32_e32 v24, 0x330, v228
	v_add_co_u32 v18, vcc_lo, v30, v18
	v_add_co_ci_u32_e32 v19, vcc_lo, v31, v19, vcc_lo
	v_add_co_u32 v20, vcc_lo, v30, v20
	v_add_co_ci_u32_e32 v21, vcc_lo, v31, v21, vcc_lo
	v_add_co_u32 v22, vcc_lo, v30, v22
	s_waitcnt lgkmcnt(3)
	global_store_b128 v[16:17], v[0:3], off
	s_waitcnt lgkmcnt(2)
	global_store_b128 v[18:19], v[4:7], off
	v_dual_mov_b32 v3, v229 :: v_dual_add_nc_u32 v2, 0x374, v228
	v_add_co_ci_u32_e32 v23, vcc_lo, v31, v23, vcc_lo
	v_lshlrev_b64 v[0:1], 4, v[24:25]
	s_waitcnt lgkmcnt(1)
	global_store_b128 v[20:21], v[8:11], off
	s_waitcnt lgkmcnt(0)
	global_store_b128 v[22:23], v[12:15], off
	v_mov_b32_e32 v11, v229
	v_lshlrev_b64 v[8:9], 4, v[2:3]
	v_add_nc_u32_e32 v10, 0x3b8, v228
	v_add_co_u32 v20, vcc_lo, v30, v0
	v_add_co_ci_u32_e32 v21, vcc_lo, v31, v1, vcc_lo
	s_delay_alu instid0(VALU_DEP_4)
	v_add_co_u32 v22, vcc_lo, v30, v8
	ds_load_b128 v[0:3], v28 offset:13056
	ds_load_b128 v[4:7], v28 offset:14144
	v_add_co_ci_u32_e32 v23, vcc_lo, v31, v9, vcc_lo
	v_lshlrev_b64 v[26:27], 4, v[10:11]
	ds_load_b128 v[8:11], v28 offset:15232
	ds_load_b128 v[12:15], v28 offset:16320
	;; [unrolled: 1-line block ×3, first 2 shown]
	v_add_nc_u32_e32 v24, 0x3fc, v228
	v_add_nc_u32_e32 v228, 0x440, v228
	v_add_co_u32 v26, vcc_lo, v30, v26
	s_delay_alu instid0(VALU_DEP_3) | instskip(NEXT) | instid1(VALU_DEP_3)
	v_lshlrev_b64 v[24:25], 4, v[24:25]
	v_lshlrev_b64 v[28:29], 4, v[228:229]
	v_add_co_ci_u32_e32 v27, vcc_lo, v31, v27, vcc_lo
	s_delay_alu instid0(VALU_DEP_3) | instskip(NEXT) | instid1(VALU_DEP_4)
	v_add_co_u32 v24, vcc_lo, v30, v24
	v_add_co_ci_u32_e32 v25, vcc_lo, v31, v25, vcc_lo
	s_delay_alu instid0(VALU_DEP_4)
	v_add_co_u32 v28, vcc_lo, v30, v28
	v_add_co_ci_u32_e32 v29, vcc_lo, v31, v29, vcc_lo
	s_waitcnt lgkmcnt(4)
	global_store_b128 v[20:21], v[0:3], off
	s_waitcnt lgkmcnt(3)
	global_store_b128 v[22:23], v[4:7], off
	;; [unrolled: 2-line block ×5, first 2 shown]
.LBB0_28:
	s_nop 0
	s_sendmsg sendmsg(MSG_DEALLOC_VGPRS)
	s_endpgm
	.section	.rodata,"a",@progbits
	.p2align	6, 0x0
	.amdhsa_kernel fft_rtc_back_len1156_factors_17_2_17_2_wgs_204_tpt_68_halfLds_dp_ip_CI_unitstride_sbrr_C2R_dirReg
		.amdhsa_group_segment_fixed_size 0
		.amdhsa_private_segment_fixed_size 92
		.amdhsa_kernarg_size 88
		.amdhsa_user_sgpr_count 15
		.amdhsa_user_sgpr_dispatch_ptr 0
		.amdhsa_user_sgpr_queue_ptr 0
		.amdhsa_user_sgpr_kernarg_segment_ptr 1
		.amdhsa_user_sgpr_dispatch_id 0
		.amdhsa_user_sgpr_private_segment_size 0
		.amdhsa_wavefront_size32 1
		.amdhsa_uses_dynamic_stack 0
		.amdhsa_enable_private_segment 1
		.amdhsa_system_sgpr_workgroup_id_x 1
		.amdhsa_system_sgpr_workgroup_id_y 0
		.amdhsa_system_sgpr_workgroup_id_z 0
		.amdhsa_system_sgpr_workgroup_info 0
		.amdhsa_system_vgpr_workitem_id 0
		.amdhsa_next_free_vgpr 256
		.amdhsa_next_free_sgpr 56
		.amdhsa_reserve_vcc 1
		.amdhsa_float_round_mode_32 0
		.amdhsa_float_round_mode_16_64 0
		.amdhsa_float_denorm_mode_32 3
		.amdhsa_float_denorm_mode_16_64 3
		.amdhsa_dx10_clamp 1
		.amdhsa_ieee_mode 1
		.amdhsa_fp16_overflow 0
		.amdhsa_workgroup_processor_mode 1
		.amdhsa_memory_ordered 1
		.amdhsa_forward_progress 0
		.amdhsa_shared_vgpr_count 0
		.amdhsa_exception_fp_ieee_invalid_op 0
		.amdhsa_exception_fp_denorm_src 0
		.amdhsa_exception_fp_ieee_div_zero 0
		.amdhsa_exception_fp_ieee_overflow 0
		.amdhsa_exception_fp_ieee_underflow 0
		.amdhsa_exception_fp_ieee_inexact 0
		.amdhsa_exception_int_div_zero 0
	.end_amdhsa_kernel
	.text
.Lfunc_end0:
	.size	fft_rtc_back_len1156_factors_17_2_17_2_wgs_204_tpt_68_halfLds_dp_ip_CI_unitstride_sbrr_C2R_dirReg, .Lfunc_end0-fft_rtc_back_len1156_factors_17_2_17_2_wgs_204_tpt_68_halfLds_dp_ip_CI_unitstride_sbrr_C2R_dirReg
                                        ; -- End function
	.section	.AMDGPU.csdata,"",@progbits
; Kernel info:
; codeLenInByte = 22516
; NumSgprs: 58
; NumVgprs: 256
; ScratchSize: 92
; MemoryBound: 0
; FloatMode: 240
; IeeeMode: 1
; LDSByteSize: 0 bytes/workgroup (compile time only)
; SGPRBlocks: 7
; VGPRBlocks: 31
; NumSGPRsForWavesPerEU: 58
; NumVGPRsForWavesPerEU: 256
; Occupancy: 5
; WaveLimiterHint : 1
; COMPUTE_PGM_RSRC2:SCRATCH_EN: 1
; COMPUTE_PGM_RSRC2:USER_SGPR: 15
; COMPUTE_PGM_RSRC2:TRAP_HANDLER: 0
; COMPUTE_PGM_RSRC2:TGID_X_EN: 1
; COMPUTE_PGM_RSRC2:TGID_Y_EN: 0
; COMPUTE_PGM_RSRC2:TGID_Z_EN: 0
; COMPUTE_PGM_RSRC2:TIDIG_COMP_CNT: 0
	.text
	.p2alignl 7, 3214868480
	.fill 96, 4, 3214868480
	.type	__hip_cuid_182e39213086ff88,@object ; @__hip_cuid_182e39213086ff88
	.section	.bss,"aw",@nobits
	.globl	__hip_cuid_182e39213086ff88
__hip_cuid_182e39213086ff88:
	.byte	0                               ; 0x0
	.size	__hip_cuid_182e39213086ff88, 1

	.ident	"AMD clang version 19.0.0git (https://github.com/RadeonOpenCompute/llvm-project roc-6.4.0 25133 c7fe45cf4b819c5991fe208aaa96edf142730f1d)"
	.section	".note.GNU-stack","",@progbits
	.addrsig
	.addrsig_sym __hip_cuid_182e39213086ff88
	.amdgpu_metadata
---
amdhsa.kernels:
  - .args:
      - .actual_access:  read_only
        .address_space:  global
        .offset:         0
        .size:           8
        .value_kind:     global_buffer
      - .offset:         8
        .size:           8
        .value_kind:     by_value
      - .actual_access:  read_only
        .address_space:  global
        .offset:         16
        .size:           8
        .value_kind:     global_buffer
      - .actual_access:  read_only
        .address_space:  global
        .offset:         24
        .size:           8
        .value_kind:     global_buffer
      - .offset:         32
        .size:           8
        .value_kind:     by_value
      - .actual_access:  read_only
        .address_space:  global
        .offset:         40
        .size:           8
        .value_kind:     global_buffer
      - .actual_access:  read_only
        .address_space:  global
        .offset:         48
        .size:           8
        .value_kind:     global_buffer
      - .offset:         56
        .size:           4
        .value_kind:     by_value
      - .actual_access:  read_only
        .address_space:  global
        .offset:         64
        .size:           8
        .value_kind:     global_buffer
      - .actual_access:  read_only
        .address_space:  global
        .offset:         72
        .size:           8
        .value_kind:     global_buffer
      - .address_space:  global
        .offset:         80
        .size:           8
        .value_kind:     global_buffer
    .group_segment_fixed_size: 0
    .kernarg_segment_align: 8
    .kernarg_segment_size: 88
    .language:       OpenCL C
    .language_version:
      - 2
      - 0
    .max_flat_workgroup_size: 204
    .name:           fft_rtc_back_len1156_factors_17_2_17_2_wgs_204_tpt_68_halfLds_dp_ip_CI_unitstride_sbrr_C2R_dirReg
    .private_segment_fixed_size: 92
    .sgpr_count:     58
    .sgpr_spill_count: 0
    .symbol:         fft_rtc_back_len1156_factors_17_2_17_2_wgs_204_tpt_68_halfLds_dp_ip_CI_unitstride_sbrr_C2R_dirReg.kd
    .uniform_work_group_size: 1
    .uses_dynamic_stack: false
    .vgpr_count:     256
    .vgpr_spill_count: 22
    .wavefront_size: 32
    .workgroup_processor_mode: 1
amdhsa.target:   amdgcn-amd-amdhsa--gfx1100
amdhsa.version:
  - 1
  - 2
...

	.end_amdgpu_metadata
